;; amdgpu-corpus repo=ROCm/rocSPARSE kind=compiled arch=gfx1250 opt=O3
	.amdgcn_target "amdgcn-amd-amdhsa--gfx1250"
	.amdhsa_code_object_version 6
	.section	.text._ZN9rocsparseL22dense_transpose_kernelILj32ELj8EiffEEvT1_S1_T3_PKT2_lPS3_l,"axG",@progbits,_ZN9rocsparseL22dense_transpose_kernelILj32ELj8EiffEEvT1_S1_T3_PKT2_lPS3_l,comdat
	.globl	_ZN9rocsparseL22dense_transpose_kernelILj32ELj8EiffEEvT1_S1_T3_PKT2_lPS3_l ; -- Begin function _ZN9rocsparseL22dense_transpose_kernelILj32ELj8EiffEEvT1_S1_T3_PKT2_lPS3_l
	.p2align	8
	.type	_ZN9rocsparseL22dense_transpose_kernelILj32ELj8EiffEEvT1_S1_T3_PKT2_lPS3_l,@function
_ZN9rocsparseL22dense_transpose_kernelILj32ELj8EiffEEvT1_S1_T3_PKT2_lPS3_l: ; @_ZN9rocsparseL22dense_transpose_kernelILj32ELj8EiffEEvT1_S1_T3_PKT2_lPS3_l
; %bb.0:
	s_load_b96 s[12:14], s[0:1], 0x0
	s_wait_kmcnt 0x0
	s_cmp_lt_i32 s13, 1
	s_cbranch_scc1 .LBB0_20
; %bb.1:
	s_load_b256 s[4:11], s[0:1], 0x10
	s_bfe_u32 s2, ttmp6, 0x4000c
	s_wait_xcnt 0x0
	s_and_b32 s0, ttmp6, 15
	s_add_co_i32 s2, s2, 1
	v_dual_mov_b32 v3, 0 :: v_dual_lshrrev_b32 v14, 5, v0
	s_mul_i32 s1, ttmp9, s2
	s_getreg_b32 s2, hwreg(HW_REG_IB_STS2, 6, 4)
	s_add_co_i32 s0, s0, s1
	s_cmp_eq_u32 s2, 0
	v_dual_lshlrev_b32 v17, 2, v14 :: v_dual_bitop2_b32 v15, 31, v0 bitop3:0x40
	s_cselect_b32 s0, ttmp9, s0
	v_mov_b32_e32 v13, v3
	s_lshl_b32 s0, s0, 5
	s_delay_alu instid0(SALU_CYCLE_1) | instskip(SKIP_2) | instid1(VALU_DEP_3)
	v_dual_mov_b32 v19, v3 :: v_dual_bitop2_b32 v2, s0, v14 bitop3:0x54
	v_or_b32_e32 v0, s0, v15
	v_lshl_or_b32 v17, v15, 7, v17
	v_cmp_le_u32_e32 vcc_lo, s12, v2
	v_or_b32_e32 v12, 8, v2
	s_delay_alu instid0(VALU_DEP_4)
	v_dual_ashrrev_i32 v1, 31, v0 :: v_dual_bitop2_b32 v18, 16, v2 bitop3:0x54
	s_wait_kmcnt 0x0
	v_mul_u64_e32 v[4:5], s[10:11], v[2:3]
	v_or_b32_e32 v2, 24, v2
	v_mul_u64_e32 v[6:7], s[10:11], v[12:13]
	v_mul_u64_e32 v[8:9], s[10:11], v[18:19]
	v_lshlrev_b32_e32 v13, 2, v15
	v_cmp_gt_i32_e64 s0, s12, v0
	v_mul_u64_e32 v[10:11], s[10:11], v[2:3]
	v_lshl_add_u64 v[0:1], v[0:1], 2, s[4:5]
	v_cmp_le_u32_e64 s1, s12, v12
	v_lshl_or_b32 v16, v14, 7, v13
	v_cmp_le_u32_e64 s2, s12, v18
	v_cmp_le_u32_e64 s3, s12, v2
	s_mov_b32 s5, 0
	s_branch .LBB0_3
.LBB0_2:                                ;   in Loop: Header=BB0_3 Depth=1
	s_wait_xcnt 0x0
	s_or_b32 exec_lo, exec_lo, s4
	s_add_co_i32 s5, s5, 32
	s_delay_alu instid0(SALU_CYCLE_1)
	s_cmp_lt_i32 s5, s13
	s_cbranch_scc0 .LBB0_20
.LBB0_3:                                ; =>This Inner Loop Header: Depth=1
	v_add_nc_u32_e32 v2, s5, v14
	s_barrier_signal -1
	s_barrier_wait -1
	s_delay_alu instid0(VALU_DEP_1) | instskip(SKIP_1) | instid1(SALU_CYCLE_1)
	v_cmp_gt_u32_e64 s4, s13, v2
	s_and_b32 s10, s0, s4
	s_and_saveexec_b32 s4, s10
	s_cbranch_execz .LBB0_5
; %bb.4:                                ;   in Loop: Header=BB0_3 Depth=1
	v_mul_u64_e32 v[12:13], s[6:7], v[2:3]
	s_delay_alu instid0(VALU_DEP_1)
	v_lshl_add_u64 v[12:13], v[12:13], 2, v[0:1]
	global_load_b32 v12, v[12:13], off
	s_wait_loadcnt 0x0
	ds_store_b32 v16, v12
.LBB0_5:                                ;   in Loop: Header=BB0_3 Depth=1
	s_wait_xcnt 0x0
	s_or_b32 exec_lo, exec_lo, s4
	s_and_saveexec_b32 s10, s0
	s_cbranch_execz .LBB0_12
; %bb.6:                                ;   in Loop: Header=BB0_3 Depth=1
	v_add_nc_u32_e32 v12, 8, v2
	s_mov_b32 s11, exec_lo
	s_delay_alu instid0(VALU_DEP_1)
	v_cmpx_gt_u32_e64 s13, v12
	s_cbranch_execz .LBB0_8
; %bb.7:                                ;   in Loop: Header=BB0_3 Depth=1
	v_mov_b32_e32 v13, v3
	s_delay_alu instid0(VALU_DEP_1) | instskip(NEXT) | instid1(VALU_DEP_1)
	v_mul_u64_e32 v[12:13], s[6:7], v[12:13]
	v_lshl_add_u64 v[12:13], v[12:13], 2, v[0:1]
	global_load_b32 v12, v[12:13], off
	s_wait_loadcnt 0x0
	ds_store_b32 v16, v12 offset:1024
.LBB0_8:                                ;   in Loop: Header=BB0_3 Depth=1
	s_wait_xcnt 0x0
	s_or_b32 exec_lo, exec_lo, s11
	v_add_nc_u32_e32 v12, 16, v2
	s_mov_b32 s11, exec_lo
	s_delay_alu instid0(VALU_DEP_1)
	v_cmpx_gt_u32_e64 s13, v12
	s_cbranch_execz .LBB0_10
; %bb.9:                                ;   in Loop: Header=BB0_3 Depth=1
	v_mov_b32_e32 v13, v3
	s_delay_alu instid0(VALU_DEP_1) | instskip(NEXT) | instid1(VALU_DEP_1)
	v_mul_u64_e32 v[12:13], s[6:7], v[12:13]
	v_lshl_add_u64 v[12:13], v[12:13], 2, v[0:1]
	global_load_b32 v12, v[12:13], off
	s_wait_loadcnt 0x0
	ds_store_b32 v16, v12 offset:2048
.LBB0_10:                               ;   in Loop: Header=BB0_3 Depth=1
	s_wait_xcnt 0x0
	s_or_b32 exec_lo, exec_lo, s11
	v_add_nc_u32_e32 v2, 24, v2
	s_delay_alu instid0(VALU_DEP_1)
	v_cmp_gt_u32_e64 s4, s13, v2
	s_and_b32 exec_lo, exec_lo, s4
	s_cbranch_execz .LBB0_12
; %bb.11:                               ;   in Loop: Header=BB0_3 Depth=1
	v_mul_u64_e32 v[12:13], s[6:7], v[2:3]
	s_delay_alu instid0(VALU_DEP_1)
	v_lshl_add_u64 v[12:13], v[12:13], 2, v[0:1]
	global_load_b32 v2, v[12:13], off
	s_wait_loadcnt 0x0
	ds_store_b32 v16, v2 offset:3072
.LBB0_12:                               ;   in Loop: Header=BB0_3 Depth=1
	s_wait_xcnt 0x0
	s_or_b32 exec_lo, exec_lo, s10
	v_add_nc_u32_e32 v12, s5, v15
	s_wait_dscnt 0x0
	s_barrier_signal -1
	s_barrier_wait -1
	s_delay_alu instid0(VALU_DEP_1) | instskip(SKIP_1) | instid1(VALU_DEP_2)
	v_ashrrev_i32_e32 v13, 31, v12
	v_cmp_le_i32_e64 s4, s13, v12
	v_lshl_add_u64 v[12:13], v[12:13], 2, s[8:9]
	s_nor_b32 s11, s4, vcc_lo
	s_delay_alu instid0(SALU_CYCLE_1)
	s_and_saveexec_b32 s10, s11
	s_cbranch_execnz .LBB0_16
; %bb.13:                               ;   in Loop: Header=BB0_3 Depth=1
	s_or_b32 exec_lo, exec_lo, s10
	s_nor_b32 s11, s4, s1
	s_delay_alu instid0(SALU_CYCLE_1)
	s_and_saveexec_b32 s10, s11
	s_cbranch_execnz .LBB0_17
.LBB0_14:                               ;   in Loop: Header=BB0_3 Depth=1
	s_or_b32 exec_lo, exec_lo, s10
	s_nor_b32 s11, s4, s2
	s_delay_alu instid0(SALU_CYCLE_1)
	s_and_saveexec_b32 s10, s11
	s_cbranch_execnz .LBB0_18
.LBB0_15:                               ;   in Loop: Header=BB0_3 Depth=1
	s_or_b32 exec_lo, exec_lo, s10
	s_nor_b32 s10, s4, s3
	s_delay_alu instid0(SALU_CYCLE_1)
	s_and_saveexec_b32 s4, s10
	s_cbranch_execz .LBB0_2
	s_branch .LBB0_19
.LBB0_16:                               ;   in Loop: Header=BB0_3 Depth=1
	ds_load_b32 v2, v17
	v_lshl_add_u64 v[18:19], v[4:5], 2, v[12:13]
	s_wait_dscnt 0x0
	v_mul_f32_e32 v2, s14, v2
	global_store_b32 v[18:19], v2, off
	s_wait_xcnt 0x0
	s_or_b32 exec_lo, exec_lo, s10
	s_nor_b32 s11, s4, s1
	s_delay_alu instid0(SALU_CYCLE_1)
	s_and_saveexec_b32 s10, s11
	s_cbranch_execz .LBB0_14
.LBB0_17:                               ;   in Loop: Header=BB0_3 Depth=1
	ds_load_b32 v2, v17 offset:32
	v_lshl_add_u64 v[18:19], v[6:7], 2, v[12:13]
	s_wait_dscnt 0x0
	v_mul_f32_e32 v2, s14, v2
	global_store_b32 v[18:19], v2, off
	s_wait_xcnt 0x0
	s_or_b32 exec_lo, exec_lo, s10
	s_nor_b32 s11, s4, s2
	s_delay_alu instid0(SALU_CYCLE_1)
	s_and_saveexec_b32 s10, s11
	s_cbranch_execz .LBB0_15
.LBB0_18:                               ;   in Loop: Header=BB0_3 Depth=1
	ds_load_b32 v2, v17 offset:64
	v_lshl_add_u64 v[18:19], v[8:9], 2, v[12:13]
	s_wait_dscnt 0x0
	v_mul_f32_e32 v2, s14, v2
	global_store_b32 v[18:19], v2, off
	s_wait_xcnt 0x0
	s_or_b32 exec_lo, exec_lo, s10
	s_nor_b32 s10, s4, s3
	s_delay_alu instid0(SALU_CYCLE_1)
	s_and_saveexec_b32 s4, s10
	s_cbranch_execz .LBB0_2
.LBB0_19:                               ;   in Loop: Header=BB0_3 Depth=1
	ds_load_b32 v2, v17 offset:96
	v_lshl_add_u64 v[12:13], v[10:11], 2, v[12:13]
	s_wait_dscnt 0x0
	v_mul_f32_e32 v2, s14, v2
	global_store_b32 v[12:13], v2, off
	s_branch .LBB0_2
.LBB0_20:
	s_endpgm
	.section	.rodata,"a",@progbits
	.p2align	6, 0x0
	.amdhsa_kernel _ZN9rocsparseL22dense_transpose_kernelILj32ELj8EiffEEvT1_S1_T3_PKT2_lPS3_l
		.amdhsa_group_segment_fixed_size 4096
		.amdhsa_private_segment_fixed_size 0
		.amdhsa_kernarg_size 48
		.amdhsa_user_sgpr_count 2
		.amdhsa_user_sgpr_dispatch_ptr 0
		.amdhsa_user_sgpr_queue_ptr 0
		.amdhsa_user_sgpr_kernarg_segment_ptr 1
		.amdhsa_user_sgpr_dispatch_id 0
		.amdhsa_user_sgpr_kernarg_preload_length 0
		.amdhsa_user_sgpr_kernarg_preload_offset 0
		.amdhsa_user_sgpr_private_segment_size 0
		.amdhsa_wavefront_size32 1
		.amdhsa_uses_dynamic_stack 0
		.amdhsa_enable_private_segment 0
		.amdhsa_system_sgpr_workgroup_id_x 1
		.amdhsa_system_sgpr_workgroup_id_y 0
		.amdhsa_system_sgpr_workgroup_id_z 0
		.amdhsa_system_sgpr_workgroup_info 0
		.amdhsa_system_vgpr_workitem_id 0
		.amdhsa_next_free_vgpr 20
		.amdhsa_next_free_sgpr 15
		.amdhsa_named_barrier_count 0
		.amdhsa_reserve_vcc 1
		.amdhsa_float_round_mode_32 0
		.amdhsa_float_round_mode_16_64 0
		.amdhsa_float_denorm_mode_32 3
		.amdhsa_float_denorm_mode_16_64 3
		.amdhsa_fp16_overflow 0
		.amdhsa_memory_ordered 1
		.amdhsa_forward_progress 1
		.amdhsa_inst_pref_size 8
		.amdhsa_round_robin_scheduling 0
		.amdhsa_exception_fp_ieee_invalid_op 0
		.amdhsa_exception_fp_denorm_src 0
		.amdhsa_exception_fp_ieee_div_zero 0
		.amdhsa_exception_fp_ieee_overflow 0
		.amdhsa_exception_fp_ieee_underflow 0
		.amdhsa_exception_fp_ieee_inexact 0
		.amdhsa_exception_int_div_zero 0
	.end_amdhsa_kernel
	.section	.text._ZN9rocsparseL22dense_transpose_kernelILj32ELj8EiffEEvT1_S1_T3_PKT2_lPS3_l,"axG",@progbits,_ZN9rocsparseL22dense_transpose_kernelILj32ELj8EiffEEvT1_S1_T3_PKT2_lPS3_l,comdat
.Lfunc_end0:
	.size	_ZN9rocsparseL22dense_transpose_kernelILj32ELj8EiffEEvT1_S1_T3_PKT2_lPS3_l, .Lfunc_end0-_ZN9rocsparseL22dense_transpose_kernelILj32ELj8EiffEEvT1_S1_T3_PKT2_lPS3_l
                                        ; -- End function
	.set _ZN9rocsparseL22dense_transpose_kernelILj32ELj8EiffEEvT1_S1_T3_PKT2_lPS3_l.num_vgpr, 20
	.set _ZN9rocsparseL22dense_transpose_kernelILj32ELj8EiffEEvT1_S1_T3_PKT2_lPS3_l.num_agpr, 0
	.set _ZN9rocsparseL22dense_transpose_kernelILj32ELj8EiffEEvT1_S1_T3_PKT2_lPS3_l.numbered_sgpr, 15
	.set _ZN9rocsparseL22dense_transpose_kernelILj32ELj8EiffEEvT1_S1_T3_PKT2_lPS3_l.num_named_barrier, 0
	.set _ZN9rocsparseL22dense_transpose_kernelILj32ELj8EiffEEvT1_S1_T3_PKT2_lPS3_l.private_seg_size, 0
	.set _ZN9rocsparseL22dense_transpose_kernelILj32ELj8EiffEEvT1_S1_T3_PKT2_lPS3_l.uses_vcc, 1
	.set _ZN9rocsparseL22dense_transpose_kernelILj32ELj8EiffEEvT1_S1_T3_PKT2_lPS3_l.uses_flat_scratch, 0
	.set _ZN9rocsparseL22dense_transpose_kernelILj32ELj8EiffEEvT1_S1_T3_PKT2_lPS3_l.has_dyn_sized_stack, 0
	.set _ZN9rocsparseL22dense_transpose_kernelILj32ELj8EiffEEvT1_S1_T3_PKT2_lPS3_l.has_recursion, 0
	.set _ZN9rocsparseL22dense_transpose_kernelILj32ELj8EiffEEvT1_S1_T3_PKT2_lPS3_l.has_indirect_call, 0
	.section	.AMDGPU.csdata,"",@progbits
; Kernel info:
; codeLenInByte = 916
; TotalNumSgprs: 17
; NumVgprs: 20
; ScratchSize: 0
; MemoryBound: 0
; FloatMode: 240
; IeeeMode: 1
; LDSByteSize: 4096 bytes/workgroup (compile time only)
; SGPRBlocks: 0
; VGPRBlocks: 1
; NumSGPRsForWavesPerEU: 17
; NumVGPRsForWavesPerEU: 20
; NamedBarCnt: 0
; Occupancy: 16
; WaveLimiterHint : 0
; COMPUTE_PGM_RSRC2:SCRATCH_EN: 0
; COMPUTE_PGM_RSRC2:USER_SGPR: 2
; COMPUTE_PGM_RSRC2:TRAP_HANDLER: 0
; COMPUTE_PGM_RSRC2:TGID_X_EN: 1
; COMPUTE_PGM_RSRC2:TGID_Y_EN: 0
; COMPUTE_PGM_RSRC2:TGID_Z_EN: 0
; COMPUTE_PGM_RSRC2:TIDIG_COMP_CNT: 0
	.section	.text._ZN9rocsparseL22dense_transpose_kernelILj32ELj8EifPKfEEvT1_S3_T3_PKT2_lPS5_l,"axG",@progbits,_ZN9rocsparseL22dense_transpose_kernelILj32ELj8EifPKfEEvT1_S3_T3_PKT2_lPS5_l,comdat
	.globl	_ZN9rocsparseL22dense_transpose_kernelILj32ELj8EifPKfEEvT1_S3_T3_PKT2_lPS5_l ; -- Begin function _ZN9rocsparseL22dense_transpose_kernelILj32ELj8EifPKfEEvT1_S3_T3_PKT2_lPS5_l
	.p2align	8
	.type	_ZN9rocsparseL22dense_transpose_kernelILj32ELj8EifPKfEEvT1_S3_T3_PKT2_lPS5_l,@function
_ZN9rocsparseL22dense_transpose_kernelILj32ELj8EifPKfEEvT1_S3_T3_PKT2_lPS5_l: ; @_ZN9rocsparseL22dense_transpose_kernelILj32ELj8EifPKfEEvT1_S3_T3_PKT2_lPS5_l
; %bb.0:
	s_load_b64 s[12:13], s[0:1], 0x0
	s_wait_kmcnt 0x0
	s_cmp_lt_i32 s13, 1
	s_cbranch_scc1 .LBB1_20
; %bb.1:
	s_load_b64 s[2:3], s[0:1], 0x28
	s_bfe_u32 s4, ttmp6, 0x4000c
	s_and_b32 s5, ttmp6, 15
	s_add_co_i32 s4, s4, 1
	s_getreg_b32 s6, hwreg(HW_REG_IB_STS2, 6, 4)
	s_mul_i32 s4, ttmp9, s4
	v_dual_mov_b32 v3, 0 :: v_dual_lshrrev_b32 v14, 5, v0
	s_add_co_i32 s5, s5, s4
	s_cmp_eq_u32 s6, 0
	s_delay_alu instid0(VALU_DEP_1)
	v_dual_lshlrev_b32 v17, 2, v14 :: v_dual_bitop2_b32 v15, 31, v0 bitop3:0x40
	s_cselect_b32 s4, ttmp9, s5
	v_mov_b32_e32 v13, v3
	s_lshl_b32 s14, s4, 5
	s_load_b256 s[4:11], s[0:1], 0x8
	v_dual_mov_b32 v19, v3 :: v_dual_bitop2_b32 v2, s14, v14 bitop3:0x54
	v_or_b32_e32 v0, s14, v15
	v_lshl_or_b32 v17, v15, 7, v17
	s_delay_alu instid0(VALU_DEP_3) | instskip(SKIP_1) | instid1(VALU_DEP_4)
	v_cmp_le_u32_e32 vcc_lo, s12, v2
	v_or_b32_e32 v12, 8, v2
	v_dual_ashrrev_i32 v1, 31, v0 :: v_dual_bitop2_b32 v18, 16, v2 bitop3:0x54
	s_wait_kmcnt 0x0
	v_mul_u64_e32 v[4:5], s[2:3], v[2:3]
	v_or_b32_e32 v2, 24, v2
	v_mul_u64_e32 v[6:7], s[2:3], v[12:13]
	v_mul_u64_e32 v[8:9], s[2:3], v[18:19]
	v_lshlrev_b32_e32 v13, 2, v15
	v_cmp_gt_i32_e64 s0, s12, v0
	v_mul_u64_e32 v[10:11], s[2:3], v[2:3]
	v_cmp_le_u32_e64 s1, s12, v12
	v_cmp_le_u32_e64 s2, s12, v18
	v_lshl_or_b32 v16, v14, 7, v13
	s_load_b32 s5, s[4:5], 0x0
	v_lshl_add_u64 v[0:1], v[0:1], 2, s[6:7]
	v_cmp_le_u32_e64 s3, s12, v2
	s_mov_b32 s6, 0
	s_branch .LBB1_3
.LBB1_2:                                ;   in Loop: Header=BB1_3 Depth=1
	s_wait_xcnt 0x0
	s_or_b32 exec_lo, exec_lo, s4
	s_add_co_i32 s6, s6, 32
	s_delay_alu instid0(SALU_CYCLE_1)
	s_cmp_lt_i32 s6, s13
	s_cbranch_scc0 .LBB1_20
.LBB1_3:                                ; =>This Inner Loop Header: Depth=1
	v_add_nc_u32_e32 v2, s6, v14
	s_barrier_signal -1
	s_barrier_wait -1
	s_wait_xcnt 0x0
	s_delay_alu instid0(VALU_DEP_1) | instskip(SKIP_1) | instid1(SALU_CYCLE_1)
	v_cmp_gt_u32_e64 s4, s13, v2
	s_and_b32 s7, s0, s4
	s_and_saveexec_b32 s4, s7
	s_cbranch_execz .LBB1_5
; %bb.4:                                ;   in Loop: Header=BB1_3 Depth=1
	v_mul_u64_e32 v[12:13], s[8:9], v[2:3]
	s_delay_alu instid0(VALU_DEP_1)
	v_lshl_add_u64 v[12:13], v[12:13], 2, v[0:1]
	global_load_b32 v12, v[12:13], off
	s_wait_loadcnt 0x0
	ds_store_b32 v16, v12
.LBB1_5:                                ;   in Loop: Header=BB1_3 Depth=1
	s_wait_xcnt 0x0
	s_or_b32 exec_lo, exec_lo, s4
	s_and_saveexec_b32 s7, s0
	s_cbranch_execz .LBB1_12
; %bb.6:                                ;   in Loop: Header=BB1_3 Depth=1
	v_add_nc_u32_e32 v12, 8, v2
	s_mov_b32 s12, exec_lo
	s_delay_alu instid0(VALU_DEP_1)
	v_cmpx_gt_u32_e64 s13, v12
	s_cbranch_execz .LBB1_8
; %bb.7:                                ;   in Loop: Header=BB1_3 Depth=1
	v_mov_b32_e32 v13, v3
	s_delay_alu instid0(VALU_DEP_1) | instskip(NEXT) | instid1(VALU_DEP_1)
	v_mul_u64_e32 v[12:13], s[8:9], v[12:13]
	v_lshl_add_u64 v[12:13], v[12:13], 2, v[0:1]
	global_load_b32 v12, v[12:13], off
	s_wait_loadcnt 0x0
	ds_store_b32 v16, v12 offset:1024
.LBB1_8:                                ;   in Loop: Header=BB1_3 Depth=1
	s_wait_xcnt 0x0
	s_or_b32 exec_lo, exec_lo, s12
	v_add_nc_u32_e32 v12, 16, v2
	s_mov_b32 s12, exec_lo
	s_delay_alu instid0(VALU_DEP_1)
	v_cmpx_gt_u32_e64 s13, v12
	s_cbranch_execz .LBB1_10
; %bb.9:                                ;   in Loop: Header=BB1_3 Depth=1
	v_mov_b32_e32 v13, v3
	s_delay_alu instid0(VALU_DEP_1) | instskip(NEXT) | instid1(VALU_DEP_1)
	v_mul_u64_e32 v[12:13], s[8:9], v[12:13]
	v_lshl_add_u64 v[12:13], v[12:13], 2, v[0:1]
	global_load_b32 v12, v[12:13], off
	s_wait_loadcnt 0x0
	ds_store_b32 v16, v12 offset:2048
.LBB1_10:                               ;   in Loop: Header=BB1_3 Depth=1
	s_wait_xcnt 0x0
	s_or_b32 exec_lo, exec_lo, s12
	v_add_nc_u32_e32 v2, 24, v2
	s_delay_alu instid0(VALU_DEP_1)
	v_cmp_gt_u32_e64 s4, s13, v2
	s_and_b32 exec_lo, exec_lo, s4
	s_cbranch_execz .LBB1_12
; %bb.11:                               ;   in Loop: Header=BB1_3 Depth=1
	v_mul_u64_e32 v[12:13], s[8:9], v[2:3]
	s_delay_alu instid0(VALU_DEP_1)
	v_lshl_add_u64 v[12:13], v[12:13], 2, v[0:1]
	global_load_b32 v2, v[12:13], off
	s_wait_loadcnt 0x0
	ds_store_b32 v16, v2 offset:3072
.LBB1_12:                               ;   in Loop: Header=BB1_3 Depth=1
	s_wait_xcnt 0x0
	s_or_b32 exec_lo, exec_lo, s7
	v_add_nc_u32_e32 v12, s6, v15
	s_wait_dscnt 0x0
	s_barrier_signal -1
	s_barrier_wait -1
	s_delay_alu instid0(VALU_DEP_1) | instskip(SKIP_1) | instid1(VALU_DEP_2)
	v_ashrrev_i32_e32 v13, 31, v12
	v_cmp_le_i32_e64 s4, s13, v12
	v_lshl_add_u64 v[12:13], v[12:13], 2, s[10:11]
	s_nor_b32 s12, s4, vcc_lo
	s_delay_alu instid0(SALU_CYCLE_1)
	s_and_saveexec_b32 s7, s12
	s_cbranch_execnz .LBB1_16
; %bb.13:                               ;   in Loop: Header=BB1_3 Depth=1
	s_or_b32 exec_lo, exec_lo, s7
	s_nor_b32 s12, s4, s1
	s_delay_alu instid0(SALU_CYCLE_1)
	s_and_saveexec_b32 s7, s12
	s_cbranch_execnz .LBB1_17
.LBB1_14:                               ;   in Loop: Header=BB1_3 Depth=1
	s_or_b32 exec_lo, exec_lo, s7
	s_nor_b32 s12, s4, s2
	s_delay_alu instid0(SALU_CYCLE_1)
	s_and_saveexec_b32 s7, s12
	s_cbranch_execnz .LBB1_18
.LBB1_15:                               ;   in Loop: Header=BB1_3 Depth=1
	s_or_b32 exec_lo, exec_lo, s7
	s_nor_b32 s7, s4, s3
	s_delay_alu instid0(SALU_CYCLE_1)
	s_and_saveexec_b32 s4, s7
	s_cbranch_execz .LBB1_2
	s_branch .LBB1_19
.LBB1_16:                               ;   in Loop: Header=BB1_3 Depth=1
	ds_load_b32 v2, v17
	v_lshl_add_u64 v[18:19], v[4:5], 2, v[12:13]
	s_wait_dscnt 0x0
	s_wait_kmcnt 0x0
	v_mul_f32_e32 v2, s5, v2
	global_store_b32 v[18:19], v2, off
	s_wait_xcnt 0x0
	s_or_b32 exec_lo, exec_lo, s7
	s_nor_b32 s12, s4, s1
	s_delay_alu instid0(SALU_CYCLE_1)
	s_and_saveexec_b32 s7, s12
	s_cbranch_execz .LBB1_14
.LBB1_17:                               ;   in Loop: Header=BB1_3 Depth=1
	ds_load_b32 v2, v17 offset:32
	v_lshl_add_u64 v[18:19], v[6:7], 2, v[12:13]
	s_wait_dscnt 0x0
	s_wait_kmcnt 0x0
	v_mul_f32_e32 v2, s5, v2
	global_store_b32 v[18:19], v2, off
	s_wait_xcnt 0x0
	s_or_b32 exec_lo, exec_lo, s7
	s_nor_b32 s12, s4, s2
	s_delay_alu instid0(SALU_CYCLE_1)
	s_and_saveexec_b32 s7, s12
	s_cbranch_execz .LBB1_15
.LBB1_18:                               ;   in Loop: Header=BB1_3 Depth=1
	ds_load_b32 v2, v17 offset:64
	v_lshl_add_u64 v[18:19], v[8:9], 2, v[12:13]
	s_wait_dscnt 0x0
	s_wait_kmcnt 0x0
	v_mul_f32_e32 v2, s5, v2
	global_store_b32 v[18:19], v2, off
	s_wait_xcnt 0x0
	s_or_b32 exec_lo, exec_lo, s7
	s_nor_b32 s7, s4, s3
	s_delay_alu instid0(SALU_CYCLE_1)
	s_and_saveexec_b32 s4, s7
	s_cbranch_execz .LBB1_2
.LBB1_19:                               ;   in Loop: Header=BB1_3 Depth=1
	ds_load_b32 v2, v17 offset:96
	v_lshl_add_u64 v[12:13], v[10:11], 2, v[12:13]
	s_wait_dscnt 0x0
	s_wait_kmcnt 0x0
	v_mul_f32_e32 v2, s5, v2
	global_store_b32 v[12:13], v2, off
	s_branch .LBB1_2
.LBB1_20:
	s_endpgm
	.section	.rodata,"a",@progbits
	.p2align	6, 0x0
	.amdhsa_kernel _ZN9rocsparseL22dense_transpose_kernelILj32ELj8EifPKfEEvT1_S3_T3_PKT2_lPS5_l
		.amdhsa_group_segment_fixed_size 4096
		.amdhsa_private_segment_fixed_size 0
		.amdhsa_kernarg_size 48
		.amdhsa_user_sgpr_count 2
		.amdhsa_user_sgpr_dispatch_ptr 0
		.amdhsa_user_sgpr_queue_ptr 0
		.amdhsa_user_sgpr_kernarg_segment_ptr 1
		.amdhsa_user_sgpr_dispatch_id 0
		.amdhsa_user_sgpr_kernarg_preload_length 0
		.amdhsa_user_sgpr_kernarg_preload_offset 0
		.amdhsa_user_sgpr_private_segment_size 0
		.amdhsa_wavefront_size32 1
		.amdhsa_uses_dynamic_stack 0
		.amdhsa_enable_private_segment 0
		.amdhsa_system_sgpr_workgroup_id_x 1
		.amdhsa_system_sgpr_workgroup_id_y 0
		.amdhsa_system_sgpr_workgroup_id_z 0
		.amdhsa_system_sgpr_workgroup_info 0
		.amdhsa_system_vgpr_workitem_id 0
		.amdhsa_next_free_vgpr 20
		.amdhsa_next_free_sgpr 15
		.amdhsa_named_barrier_count 0
		.amdhsa_reserve_vcc 1
		.amdhsa_float_round_mode_32 0
		.amdhsa_float_round_mode_16_64 0
		.amdhsa_float_denorm_mode_32 3
		.amdhsa_float_denorm_mode_16_64 3
		.amdhsa_fp16_overflow 0
		.amdhsa_memory_ordered 1
		.amdhsa_forward_progress 1
		.amdhsa_inst_pref_size 8
		.amdhsa_round_robin_scheduling 0
		.amdhsa_exception_fp_ieee_invalid_op 0
		.amdhsa_exception_fp_denorm_src 0
		.amdhsa_exception_fp_ieee_div_zero 0
		.amdhsa_exception_fp_ieee_overflow 0
		.amdhsa_exception_fp_ieee_underflow 0
		.amdhsa_exception_fp_ieee_inexact 0
		.amdhsa_exception_int_div_zero 0
	.end_amdhsa_kernel
	.section	.text._ZN9rocsparseL22dense_transpose_kernelILj32ELj8EifPKfEEvT1_S3_T3_PKT2_lPS5_l,"axG",@progbits,_ZN9rocsparseL22dense_transpose_kernelILj32ELj8EifPKfEEvT1_S3_T3_PKT2_lPS5_l,comdat
.Lfunc_end1:
	.size	_ZN9rocsparseL22dense_transpose_kernelILj32ELj8EifPKfEEvT1_S3_T3_PKT2_lPS5_l, .Lfunc_end1-_ZN9rocsparseL22dense_transpose_kernelILj32ELj8EifPKfEEvT1_S3_T3_PKT2_lPS5_l
                                        ; -- End function
	.set _ZN9rocsparseL22dense_transpose_kernelILj32ELj8EifPKfEEvT1_S3_T3_PKT2_lPS5_l.num_vgpr, 20
	.set _ZN9rocsparseL22dense_transpose_kernelILj32ELj8EifPKfEEvT1_S3_T3_PKT2_lPS5_l.num_agpr, 0
	.set _ZN9rocsparseL22dense_transpose_kernelILj32ELj8EifPKfEEvT1_S3_T3_PKT2_lPS5_l.numbered_sgpr, 15
	.set _ZN9rocsparseL22dense_transpose_kernelILj32ELj8EifPKfEEvT1_S3_T3_PKT2_lPS5_l.num_named_barrier, 0
	.set _ZN9rocsparseL22dense_transpose_kernelILj32ELj8EifPKfEEvT1_S3_T3_PKT2_lPS5_l.private_seg_size, 0
	.set _ZN9rocsparseL22dense_transpose_kernelILj32ELj8EifPKfEEvT1_S3_T3_PKT2_lPS5_l.uses_vcc, 1
	.set _ZN9rocsparseL22dense_transpose_kernelILj32ELj8EifPKfEEvT1_S3_T3_PKT2_lPS5_l.uses_flat_scratch, 0
	.set _ZN9rocsparseL22dense_transpose_kernelILj32ELj8EifPKfEEvT1_S3_T3_PKT2_lPS5_l.has_dyn_sized_stack, 0
	.set _ZN9rocsparseL22dense_transpose_kernelILj32ELj8EifPKfEEvT1_S3_T3_PKT2_lPS5_l.has_recursion, 0
	.set _ZN9rocsparseL22dense_transpose_kernelILj32ELj8EifPKfEEvT1_S3_T3_PKT2_lPS5_l.has_indirect_call, 0
	.section	.AMDGPU.csdata,"",@progbits
; Kernel info:
; codeLenInByte = 948
; TotalNumSgprs: 17
; NumVgprs: 20
; ScratchSize: 0
; MemoryBound: 0
; FloatMode: 240
; IeeeMode: 1
; LDSByteSize: 4096 bytes/workgroup (compile time only)
; SGPRBlocks: 0
; VGPRBlocks: 1
; NumSGPRsForWavesPerEU: 17
; NumVGPRsForWavesPerEU: 20
; NamedBarCnt: 0
; Occupancy: 16
; WaveLimiterHint : 0
; COMPUTE_PGM_RSRC2:SCRATCH_EN: 0
; COMPUTE_PGM_RSRC2:USER_SGPR: 2
; COMPUTE_PGM_RSRC2:TRAP_HANDLER: 0
; COMPUTE_PGM_RSRC2:TGID_X_EN: 1
; COMPUTE_PGM_RSRC2:TGID_Y_EN: 0
; COMPUTE_PGM_RSRC2:TGID_Z_EN: 0
; COMPUTE_PGM_RSRC2:TIDIG_COMP_CNT: 0
	.section	.text._ZN9rocsparseL22dense_transpose_kernelILj32ELj8EiddEEvT1_S1_T3_PKT2_lPS3_l,"axG",@progbits,_ZN9rocsparseL22dense_transpose_kernelILj32ELj8EiddEEvT1_S1_T3_PKT2_lPS3_l,comdat
	.globl	_ZN9rocsparseL22dense_transpose_kernelILj32ELj8EiddEEvT1_S1_T3_PKT2_lPS3_l ; -- Begin function _ZN9rocsparseL22dense_transpose_kernelILj32ELj8EiddEEvT1_S1_T3_PKT2_lPS3_l
	.p2align	8
	.type	_ZN9rocsparseL22dense_transpose_kernelILj32ELj8EiddEEvT1_S1_T3_PKT2_lPS3_l,@function
_ZN9rocsparseL22dense_transpose_kernelILj32ELj8EiddEEvT1_S1_T3_PKT2_lPS3_l: ; @_ZN9rocsparseL22dense_transpose_kernelILj32ELj8EiddEEvT1_S1_T3_PKT2_lPS3_l
; %bb.0:
	s_load_b64 s[4:5], s[0:1], 0x0
	s_wait_kmcnt 0x0
	s_cmp_lt_i32 s5, 1
	s_cbranch_scc1 .LBB2_20
; %bb.1:
	s_load_b64 s[2:3], s[0:1], 0x28
	s_bfe_u32 s6, ttmp6, 0x4000c
	s_and_b32 s7, ttmp6, 15
	s_add_co_i32 s6, s6, 1
	s_getreg_b32 s8, hwreg(HW_REG_IB_STS2, 6, 4)
	s_mul_i32 s6, ttmp9, s6
	v_dual_mov_b32 v3, 0 :: v_dual_lshrrev_b32 v14, 5, v0
	s_add_co_i32 s7, s7, s6
	s_cmp_eq_u32 s8, 0
	s_delay_alu instid0(VALU_DEP_1)
	v_dual_lshlrev_b32 v17, 3, v14 :: v_dual_bitop2_b32 v15, 31, v0 bitop3:0x40
	s_cselect_b32 s6, ttmp9, s7
	v_mov_b32_e32 v13, v3
	s_lshl_b32 s6, s6, 5
	s_load_b256 s[8:15], s[0:1], 0x8
	v_dual_mov_b32 v19, v3 :: v_dual_bitop2_b32 v2, s6, v14 bitop3:0x54
	v_or_b32_e32 v0, s6, v15
	v_lshl_or_b32 v17, v15, 8, v17
	s_mov_b32 s6, 0
	s_delay_alu instid0(VALU_DEP_3)
	v_cmp_le_u32_e32 vcc_lo, s4, v2
	v_or_b32_e32 v12, 8, v2
	v_dual_ashrrev_i32 v1, 31, v0 :: v_dual_bitop2_b32 v18, 16, v2 bitop3:0x54
	s_wait_kmcnt 0x0
	v_mul_u64_e32 v[4:5], s[2:3], v[2:3]
	v_or_b32_e32 v2, 24, v2
	v_mul_u64_e32 v[6:7], s[2:3], v[12:13]
	v_mul_u64_e32 v[8:9], s[2:3], v[18:19]
	v_lshlrev_b32_e32 v13, 3, v15
	v_cmp_gt_i32_e64 s0, s4, v0
	v_mul_u64_e32 v[10:11], s[2:3], v[2:3]
	v_cmp_le_u32_e64 s1, s4, v12
	v_cmp_le_u32_e64 s2, s4, v18
	v_lshl_or_b32 v16, v14, 8, v13
	v_lshl_add_u64 v[0:1], v[0:1], 3, s[10:11]
	v_cmp_le_u32_e64 s3, s4, v2
	s_branch .LBB2_3
.LBB2_2:                                ;   in Loop: Header=BB2_3 Depth=1
	s_wait_xcnt 0x0
	s_or_b32 exec_lo, exec_lo, s4
	s_add_co_i32 s6, s6, 32
	s_delay_alu instid0(SALU_CYCLE_1)
	s_cmp_lt_i32 s6, s5
	s_cbranch_scc0 .LBB2_20
.LBB2_3:                                ; =>This Inner Loop Header: Depth=1
	v_add_nc_u32_e32 v2, s6, v14
	s_barrier_signal -1
	s_barrier_wait -1
	s_delay_alu instid0(VALU_DEP_1) | instskip(SKIP_1) | instid1(SALU_CYCLE_1)
	v_cmp_gt_u32_e64 s4, s5, v2
	s_and_b32 s7, s0, s4
	s_and_saveexec_b32 s4, s7
	s_cbranch_execz .LBB2_5
; %bb.4:                                ;   in Loop: Header=BB2_3 Depth=1
	v_mul_u64_e32 v[12:13], s[12:13], v[2:3]
	s_delay_alu instid0(VALU_DEP_1)
	v_lshl_add_u64 v[12:13], v[12:13], 3, v[0:1]
	global_load_b64 v[12:13], v[12:13], off
	s_wait_loadcnt 0x0
	ds_store_b64 v16, v[12:13]
.LBB2_5:                                ;   in Loop: Header=BB2_3 Depth=1
	s_wait_xcnt 0x0
	s_or_b32 exec_lo, exec_lo, s4
	s_and_saveexec_b32 s7, s0
	s_cbranch_execz .LBB2_12
; %bb.6:                                ;   in Loop: Header=BB2_3 Depth=1
	v_add_nc_u32_e32 v12, 8, v2
	s_mov_b32 s10, exec_lo
	s_delay_alu instid0(VALU_DEP_1)
	v_cmpx_gt_u32_e64 s5, v12
	s_cbranch_execz .LBB2_8
; %bb.7:                                ;   in Loop: Header=BB2_3 Depth=1
	v_mov_b32_e32 v13, v3
	s_delay_alu instid0(VALU_DEP_1) | instskip(NEXT) | instid1(VALU_DEP_1)
	v_mul_u64_e32 v[12:13], s[12:13], v[12:13]
	v_lshl_add_u64 v[12:13], v[12:13], 3, v[0:1]
	global_load_b64 v[12:13], v[12:13], off
	s_wait_loadcnt 0x0
	ds_store_b64 v16, v[12:13] offset:2048
.LBB2_8:                                ;   in Loop: Header=BB2_3 Depth=1
	s_wait_xcnt 0x0
	s_or_b32 exec_lo, exec_lo, s10
	v_add_nc_u32_e32 v12, 16, v2
	s_mov_b32 s10, exec_lo
	s_delay_alu instid0(VALU_DEP_1)
	v_cmpx_gt_u32_e64 s5, v12
	s_cbranch_execz .LBB2_10
; %bb.9:                                ;   in Loop: Header=BB2_3 Depth=1
	v_mov_b32_e32 v13, v3
	s_delay_alu instid0(VALU_DEP_1) | instskip(NEXT) | instid1(VALU_DEP_1)
	v_mul_u64_e32 v[12:13], s[12:13], v[12:13]
	v_lshl_add_u64 v[12:13], v[12:13], 3, v[0:1]
	global_load_b64 v[12:13], v[12:13], off
	s_wait_loadcnt 0x0
	ds_store_b64 v16, v[12:13] offset:4096
.LBB2_10:                               ;   in Loop: Header=BB2_3 Depth=1
	s_wait_xcnt 0x0
	s_or_b32 exec_lo, exec_lo, s10
	v_add_nc_u32_e32 v2, 24, v2
	s_delay_alu instid0(VALU_DEP_1)
	v_cmp_gt_u32_e64 s4, s5, v2
	s_and_b32 exec_lo, exec_lo, s4
	s_cbranch_execz .LBB2_12
; %bb.11:                               ;   in Loop: Header=BB2_3 Depth=1
	v_mul_u64_e32 v[12:13], s[12:13], v[2:3]
	s_delay_alu instid0(VALU_DEP_1)
	v_lshl_add_u64 v[12:13], v[12:13], 3, v[0:1]
	global_load_b64 v[12:13], v[12:13], off
	s_wait_loadcnt 0x0
	ds_store_b64 v16, v[12:13] offset:6144
.LBB2_12:                               ;   in Loop: Header=BB2_3 Depth=1
	s_wait_xcnt 0x0
	s_or_b32 exec_lo, exec_lo, s7
	v_add_nc_u32_e32 v12, s6, v15
	s_wait_dscnt 0x0
	s_barrier_signal -1
	s_barrier_wait -1
	s_delay_alu instid0(VALU_DEP_1) | instskip(SKIP_1) | instid1(VALU_DEP_2)
	v_ashrrev_i32_e32 v13, 31, v12
	v_cmp_le_i32_e64 s4, s5, v12
	v_lshl_add_u64 v[12:13], v[12:13], 3, s[14:15]
	s_nor_b32 s10, s4, vcc_lo
	s_delay_alu instid0(SALU_CYCLE_1)
	s_and_saveexec_b32 s7, s10
	s_cbranch_execnz .LBB2_16
; %bb.13:                               ;   in Loop: Header=BB2_3 Depth=1
	s_or_b32 exec_lo, exec_lo, s7
	s_nor_b32 s10, s4, s1
	s_delay_alu instid0(SALU_CYCLE_1)
	s_and_saveexec_b32 s7, s10
	s_cbranch_execnz .LBB2_17
.LBB2_14:                               ;   in Loop: Header=BB2_3 Depth=1
	s_or_b32 exec_lo, exec_lo, s7
	s_nor_b32 s10, s4, s2
	s_delay_alu instid0(SALU_CYCLE_1)
	s_and_saveexec_b32 s7, s10
	s_cbranch_execnz .LBB2_18
.LBB2_15:                               ;   in Loop: Header=BB2_3 Depth=1
	s_or_b32 exec_lo, exec_lo, s7
	s_nor_b32 s7, s4, s3
	s_delay_alu instid0(SALU_CYCLE_1)
	s_and_saveexec_b32 s4, s7
	s_cbranch_execz .LBB2_2
	s_branch .LBB2_19
.LBB2_16:                               ;   in Loop: Header=BB2_3 Depth=1
	ds_load_b64 v[18:19], v17
	v_lshl_add_u64 v[20:21], v[4:5], 3, v[12:13]
	s_wait_dscnt 0x0
	v_mul_f64_e32 v[18:19], s[8:9], v[18:19]
	global_store_b64 v[20:21], v[18:19], off
	s_wait_xcnt 0x0
	s_or_b32 exec_lo, exec_lo, s7
	s_nor_b32 s10, s4, s1
	s_delay_alu instid0(SALU_CYCLE_1)
	s_and_saveexec_b32 s7, s10
	s_cbranch_execz .LBB2_14
.LBB2_17:                               ;   in Loop: Header=BB2_3 Depth=1
	ds_load_b64 v[18:19], v17 offset:64
	v_lshl_add_u64 v[20:21], v[6:7], 3, v[12:13]
	s_wait_dscnt 0x0
	v_mul_f64_e32 v[18:19], s[8:9], v[18:19]
	global_store_b64 v[20:21], v[18:19], off
	s_wait_xcnt 0x0
	s_or_b32 exec_lo, exec_lo, s7
	s_nor_b32 s10, s4, s2
	s_delay_alu instid0(SALU_CYCLE_1)
	s_and_saveexec_b32 s7, s10
	s_cbranch_execz .LBB2_15
.LBB2_18:                               ;   in Loop: Header=BB2_3 Depth=1
	ds_load_b64 v[18:19], v17 offset:128
	v_lshl_add_u64 v[20:21], v[8:9], 3, v[12:13]
	s_wait_dscnt 0x0
	v_mul_f64_e32 v[18:19], s[8:9], v[18:19]
	global_store_b64 v[20:21], v[18:19], off
	s_wait_xcnt 0x0
	s_or_b32 exec_lo, exec_lo, s7
	s_nor_b32 s7, s4, s3
	s_delay_alu instid0(SALU_CYCLE_1)
	s_and_saveexec_b32 s4, s7
	s_cbranch_execz .LBB2_2
.LBB2_19:                               ;   in Loop: Header=BB2_3 Depth=1
	ds_load_b64 v[18:19], v17 offset:192
	v_lshl_add_u64 v[12:13], v[10:11], 3, v[12:13]
	s_wait_dscnt 0x0
	v_mul_f64_e32 v[18:19], s[8:9], v[18:19]
	global_store_b64 v[12:13], v[18:19], off
	s_branch .LBB2_2
.LBB2_20:
	s_endpgm
	.section	.rodata,"a",@progbits
	.p2align	6, 0x0
	.amdhsa_kernel _ZN9rocsparseL22dense_transpose_kernelILj32ELj8EiddEEvT1_S1_T3_PKT2_lPS3_l
		.amdhsa_group_segment_fixed_size 8192
		.amdhsa_private_segment_fixed_size 0
		.amdhsa_kernarg_size 48
		.amdhsa_user_sgpr_count 2
		.amdhsa_user_sgpr_dispatch_ptr 0
		.amdhsa_user_sgpr_queue_ptr 0
		.amdhsa_user_sgpr_kernarg_segment_ptr 1
		.amdhsa_user_sgpr_dispatch_id 0
		.amdhsa_user_sgpr_kernarg_preload_length 0
		.amdhsa_user_sgpr_kernarg_preload_offset 0
		.amdhsa_user_sgpr_private_segment_size 0
		.amdhsa_wavefront_size32 1
		.amdhsa_uses_dynamic_stack 0
		.amdhsa_enable_private_segment 0
		.amdhsa_system_sgpr_workgroup_id_x 1
		.amdhsa_system_sgpr_workgroup_id_y 0
		.amdhsa_system_sgpr_workgroup_id_z 0
		.amdhsa_system_sgpr_workgroup_info 0
		.amdhsa_system_vgpr_workitem_id 0
		.amdhsa_next_free_vgpr 22
		.amdhsa_next_free_sgpr 16
		.amdhsa_named_barrier_count 0
		.amdhsa_reserve_vcc 1
		.amdhsa_float_round_mode_32 0
		.amdhsa_float_round_mode_16_64 0
		.amdhsa_float_denorm_mode_32 3
		.amdhsa_float_denorm_mode_16_64 3
		.amdhsa_fp16_overflow 0
		.amdhsa_memory_ordered 1
		.amdhsa_forward_progress 1
		.amdhsa_inst_pref_size 8
		.amdhsa_round_robin_scheduling 0
		.amdhsa_exception_fp_ieee_invalid_op 0
		.amdhsa_exception_fp_denorm_src 0
		.amdhsa_exception_fp_ieee_div_zero 0
		.amdhsa_exception_fp_ieee_overflow 0
		.amdhsa_exception_fp_ieee_underflow 0
		.amdhsa_exception_fp_ieee_inexact 0
		.amdhsa_exception_int_div_zero 0
	.end_amdhsa_kernel
	.section	.text._ZN9rocsparseL22dense_transpose_kernelILj32ELj8EiddEEvT1_S1_T3_PKT2_lPS3_l,"axG",@progbits,_ZN9rocsparseL22dense_transpose_kernelILj32ELj8EiddEEvT1_S1_T3_PKT2_lPS3_l,comdat
.Lfunc_end2:
	.size	_ZN9rocsparseL22dense_transpose_kernelILj32ELj8EiddEEvT1_S1_T3_PKT2_lPS3_l, .Lfunc_end2-_ZN9rocsparseL22dense_transpose_kernelILj32ELj8EiddEEvT1_S1_T3_PKT2_lPS3_l
                                        ; -- End function
	.set _ZN9rocsparseL22dense_transpose_kernelILj32ELj8EiddEEvT1_S1_T3_PKT2_lPS3_l.num_vgpr, 22
	.set _ZN9rocsparseL22dense_transpose_kernelILj32ELj8EiddEEvT1_S1_T3_PKT2_lPS3_l.num_agpr, 0
	.set _ZN9rocsparseL22dense_transpose_kernelILj32ELj8EiddEEvT1_S1_T3_PKT2_lPS3_l.numbered_sgpr, 16
	.set _ZN9rocsparseL22dense_transpose_kernelILj32ELj8EiddEEvT1_S1_T3_PKT2_lPS3_l.num_named_barrier, 0
	.set _ZN9rocsparseL22dense_transpose_kernelILj32ELj8EiddEEvT1_S1_T3_PKT2_lPS3_l.private_seg_size, 0
	.set _ZN9rocsparseL22dense_transpose_kernelILj32ELj8EiddEEvT1_S1_T3_PKT2_lPS3_l.uses_vcc, 1
	.set _ZN9rocsparseL22dense_transpose_kernelILj32ELj8EiddEEvT1_S1_T3_PKT2_lPS3_l.uses_flat_scratch, 0
	.set _ZN9rocsparseL22dense_transpose_kernelILj32ELj8EiddEEvT1_S1_T3_PKT2_lPS3_l.has_dyn_sized_stack, 0
	.set _ZN9rocsparseL22dense_transpose_kernelILj32ELj8EiddEEvT1_S1_T3_PKT2_lPS3_l.has_recursion, 0
	.set _ZN9rocsparseL22dense_transpose_kernelILj32ELj8EiddEEvT1_S1_T3_PKT2_lPS3_l.has_indirect_call, 0
	.section	.AMDGPU.csdata,"",@progbits
; Kernel info:
; codeLenInByte = 920
; TotalNumSgprs: 18
; NumVgprs: 22
; ScratchSize: 0
; MemoryBound: 0
; FloatMode: 240
; IeeeMode: 1
; LDSByteSize: 8192 bytes/workgroup (compile time only)
; SGPRBlocks: 0
; VGPRBlocks: 1
; NumSGPRsForWavesPerEU: 18
; NumVGPRsForWavesPerEU: 22
; NamedBarCnt: 0
; Occupancy: 16
; WaveLimiterHint : 0
; COMPUTE_PGM_RSRC2:SCRATCH_EN: 0
; COMPUTE_PGM_RSRC2:USER_SGPR: 2
; COMPUTE_PGM_RSRC2:TRAP_HANDLER: 0
; COMPUTE_PGM_RSRC2:TGID_X_EN: 1
; COMPUTE_PGM_RSRC2:TGID_Y_EN: 0
; COMPUTE_PGM_RSRC2:TGID_Z_EN: 0
; COMPUTE_PGM_RSRC2:TIDIG_COMP_CNT: 0
	.section	.text._ZN9rocsparseL22dense_transpose_kernelILj32ELj8EidPKdEEvT1_S3_T3_PKT2_lPS5_l,"axG",@progbits,_ZN9rocsparseL22dense_transpose_kernelILj32ELj8EidPKdEEvT1_S3_T3_PKT2_lPS5_l,comdat
	.globl	_ZN9rocsparseL22dense_transpose_kernelILj32ELj8EidPKdEEvT1_S3_T3_PKT2_lPS5_l ; -- Begin function _ZN9rocsparseL22dense_transpose_kernelILj32ELj8EidPKdEEvT1_S3_T3_PKT2_lPS5_l
	.p2align	8
	.type	_ZN9rocsparseL22dense_transpose_kernelILj32ELj8EidPKdEEvT1_S3_T3_PKT2_lPS5_l,@function
_ZN9rocsparseL22dense_transpose_kernelILj32ELj8EidPKdEEvT1_S3_T3_PKT2_lPS5_l: ; @_ZN9rocsparseL22dense_transpose_kernelILj32ELj8EidPKdEEvT1_S3_T3_PKT2_lPS5_l
; %bb.0:
	s_load_b64 s[12:13], s[0:1], 0x0
	s_wait_kmcnt 0x0
	s_cmp_lt_i32 s13, 1
	s_cbranch_scc1 .LBB3_20
; %bb.1:
	s_load_b64 s[2:3], s[0:1], 0x28
	s_bfe_u32 s4, ttmp6, 0x4000c
	s_and_b32 s5, ttmp6, 15
	s_add_co_i32 s4, s4, 1
	s_getreg_b32 s6, hwreg(HW_REG_IB_STS2, 6, 4)
	s_mul_i32 s4, ttmp9, s4
	v_dual_mov_b32 v3, 0 :: v_dual_lshrrev_b32 v14, 5, v0
	s_add_co_i32 s5, s5, s4
	s_cmp_eq_u32 s6, 0
	s_delay_alu instid0(VALU_DEP_1)
	v_dual_lshlrev_b32 v17, 3, v14 :: v_dual_bitop2_b32 v15, 31, v0 bitop3:0x40
	s_cselect_b32 s4, ttmp9, s5
	v_mov_b32_e32 v13, v3
	s_lshl_b32 s16, s4, 5
	s_load_b256 s[4:11], s[0:1], 0x8
	v_dual_mov_b32 v19, v3 :: v_dual_bitop2_b32 v2, s16, v14 bitop3:0x54
	v_or_b32_e32 v0, s16, v15
	v_lshl_or_b32 v17, v15, 8, v17
	s_delay_alu instid0(VALU_DEP_3) | instskip(SKIP_1) | instid1(VALU_DEP_4)
	v_cmp_le_u32_e32 vcc_lo, s12, v2
	v_or_b32_e32 v12, 8, v2
	v_dual_ashrrev_i32 v1, 31, v0 :: v_dual_bitop2_b32 v18, 16, v2 bitop3:0x54
	s_wait_kmcnt 0x0
	v_mul_u64_e32 v[4:5], s[2:3], v[2:3]
	v_or_b32_e32 v2, 24, v2
	v_mul_u64_e32 v[6:7], s[2:3], v[12:13]
	v_mul_u64_e32 v[8:9], s[2:3], v[18:19]
	v_lshlrev_b32_e32 v13, 3, v15
	v_cmp_gt_i32_e64 s0, s12, v0
	v_mul_u64_e32 v[10:11], s[2:3], v[2:3]
	v_cmp_le_u32_e64 s1, s12, v12
	v_cmp_le_u32_e64 s2, s12, v18
	v_lshl_or_b32 v16, v14, 8, v13
	s_load_b64 s[14:15], s[4:5], 0x0
	v_lshl_add_u64 v[0:1], v[0:1], 3, s[6:7]
	v_cmp_le_u32_e64 s3, s12, v2
	s_wait_xcnt 0x0
	s_mov_b32 s5, 0
	s_branch .LBB3_3
.LBB3_2:                                ;   in Loop: Header=BB3_3 Depth=1
	s_wait_xcnt 0x0
	s_or_b32 exec_lo, exec_lo, s4
	s_add_co_i32 s5, s5, 32
	s_delay_alu instid0(SALU_CYCLE_1)
	s_cmp_lt_i32 s5, s13
	s_cbranch_scc0 .LBB3_20
.LBB3_3:                                ; =>This Inner Loop Header: Depth=1
	v_add_nc_u32_e32 v2, s5, v14
	s_barrier_signal -1
	s_barrier_wait -1
	s_delay_alu instid0(VALU_DEP_1) | instskip(SKIP_1) | instid1(SALU_CYCLE_1)
	v_cmp_gt_u32_e64 s4, s13, v2
	s_and_b32 s6, s0, s4
	s_and_saveexec_b32 s4, s6
	s_cbranch_execz .LBB3_5
; %bb.4:                                ;   in Loop: Header=BB3_3 Depth=1
	v_mul_u64_e32 v[12:13], s[8:9], v[2:3]
	s_delay_alu instid0(VALU_DEP_1)
	v_lshl_add_u64 v[12:13], v[12:13], 3, v[0:1]
	global_load_b64 v[12:13], v[12:13], off
	s_wait_loadcnt 0x0
	ds_store_b64 v16, v[12:13]
.LBB3_5:                                ;   in Loop: Header=BB3_3 Depth=1
	s_wait_xcnt 0x0
	s_or_b32 exec_lo, exec_lo, s4
	s_and_saveexec_b32 s6, s0
	s_cbranch_execz .LBB3_12
; %bb.6:                                ;   in Loop: Header=BB3_3 Depth=1
	v_add_nc_u32_e32 v12, 8, v2
	s_mov_b32 s7, exec_lo
	s_delay_alu instid0(VALU_DEP_1)
	v_cmpx_gt_u32_e64 s13, v12
	s_cbranch_execz .LBB3_8
; %bb.7:                                ;   in Loop: Header=BB3_3 Depth=1
	v_mov_b32_e32 v13, v3
	s_delay_alu instid0(VALU_DEP_1) | instskip(NEXT) | instid1(VALU_DEP_1)
	v_mul_u64_e32 v[12:13], s[8:9], v[12:13]
	v_lshl_add_u64 v[12:13], v[12:13], 3, v[0:1]
	global_load_b64 v[12:13], v[12:13], off
	s_wait_loadcnt 0x0
	ds_store_b64 v16, v[12:13] offset:2048
.LBB3_8:                                ;   in Loop: Header=BB3_3 Depth=1
	s_wait_xcnt 0x0
	s_or_b32 exec_lo, exec_lo, s7
	v_add_nc_u32_e32 v12, 16, v2
	s_mov_b32 s7, exec_lo
	s_delay_alu instid0(VALU_DEP_1)
	v_cmpx_gt_u32_e64 s13, v12
	s_cbranch_execz .LBB3_10
; %bb.9:                                ;   in Loop: Header=BB3_3 Depth=1
	v_mov_b32_e32 v13, v3
	s_delay_alu instid0(VALU_DEP_1) | instskip(NEXT) | instid1(VALU_DEP_1)
	v_mul_u64_e32 v[12:13], s[8:9], v[12:13]
	v_lshl_add_u64 v[12:13], v[12:13], 3, v[0:1]
	global_load_b64 v[12:13], v[12:13], off
	s_wait_loadcnt 0x0
	ds_store_b64 v16, v[12:13] offset:4096
.LBB3_10:                               ;   in Loop: Header=BB3_3 Depth=1
	s_wait_xcnt 0x0
	s_or_b32 exec_lo, exec_lo, s7
	v_add_nc_u32_e32 v2, 24, v2
	s_delay_alu instid0(VALU_DEP_1)
	v_cmp_gt_u32_e64 s4, s13, v2
	s_and_b32 exec_lo, exec_lo, s4
	s_cbranch_execz .LBB3_12
; %bb.11:                               ;   in Loop: Header=BB3_3 Depth=1
	v_mul_u64_e32 v[12:13], s[8:9], v[2:3]
	s_delay_alu instid0(VALU_DEP_1)
	v_lshl_add_u64 v[12:13], v[12:13], 3, v[0:1]
	global_load_b64 v[12:13], v[12:13], off
	s_wait_loadcnt 0x0
	ds_store_b64 v16, v[12:13] offset:6144
.LBB3_12:                               ;   in Loop: Header=BB3_3 Depth=1
	s_wait_xcnt 0x0
	s_or_b32 exec_lo, exec_lo, s6
	v_add_nc_u32_e32 v12, s5, v15
	s_wait_dscnt 0x0
	s_barrier_signal -1
	s_barrier_wait -1
	s_delay_alu instid0(VALU_DEP_1) | instskip(SKIP_1) | instid1(VALU_DEP_2)
	v_ashrrev_i32_e32 v13, 31, v12
	v_cmp_le_i32_e64 s4, s13, v12
	v_lshl_add_u64 v[12:13], v[12:13], 3, s[10:11]
	s_nor_b32 s7, s4, vcc_lo
	s_delay_alu instid0(SALU_CYCLE_1)
	s_and_saveexec_b32 s6, s7
	s_cbranch_execnz .LBB3_16
; %bb.13:                               ;   in Loop: Header=BB3_3 Depth=1
	s_or_b32 exec_lo, exec_lo, s6
	s_nor_b32 s7, s4, s1
	s_delay_alu instid0(SALU_CYCLE_1)
	s_and_saveexec_b32 s6, s7
	s_cbranch_execnz .LBB3_17
.LBB3_14:                               ;   in Loop: Header=BB3_3 Depth=1
	s_or_b32 exec_lo, exec_lo, s6
	s_nor_b32 s7, s4, s2
	s_delay_alu instid0(SALU_CYCLE_1)
	s_and_saveexec_b32 s6, s7
	s_cbranch_execnz .LBB3_18
.LBB3_15:                               ;   in Loop: Header=BB3_3 Depth=1
	s_or_b32 exec_lo, exec_lo, s6
	s_nor_b32 s6, s4, s3
	s_delay_alu instid0(SALU_CYCLE_1)
	s_and_saveexec_b32 s4, s6
	s_cbranch_execz .LBB3_2
	s_branch .LBB3_19
.LBB3_16:                               ;   in Loop: Header=BB3_3 Depth=1
	ds_load_b64 v[18:19], v17
	v_lshl_add_u64 v[20:21], v[4:5], 3, v[12:13]
	s_wait_dscnt 0x0
	s_wait_kmcnt 0x0
	v_mul_f64_e32 v[18:19], s[14:15], v[18:19]
	global_store_b64 v[20:21], v[18:19], off
	s_wait_xcnt 0x0
	s_or_b32 exec_lo, exec_lo, s6
	s_nor_b32 s7, s4, s1
	s_delay_alu instid0(SALU_CYCLE_1)
	s_and_saveexec_b32 s6, s7
	s_cbranch_execz .LBB3_14
.LBB3_17:                               ;   in Loop: Header=BB3_3 Depth=1
	ds_load_b64 v[18:19], v17 offset:64
	v_lshl_add_u64 v[20:21], v[6:7], 3, v[12:13]
	s_wait_dscnt 0x0
	s_wait_kmcnt 0x0
	v_mul_f64_e32 v[18:19], s[14:15], v[18:19]
	global_store_b64 v[20:21], v[18:19], off
	s_wait_xcnt 0x0
	s_or_b32 exec_lo, exec_lo, s6
	s_nor_b32 s7, s4, s2
	s_delay_alu instid0(SALU_CYCLE_1)
	s_and_saveexec_b32 s6, s7
	s_cbranch_execz .LBB3_15
.LBB3_18:                               ;   in Loop: Header=BB3_3 Depth=1
	ds_load_b64 v[18:19], v17 offset:128
	v_lshl_add_u64 v[20:21], v[8:9], 3, v[12:13]
	s_wait_dscnt 0x0
	s_wait_kmcnt 0x0
	v_mul_f64_e32 v[18:19], s[14:15], v[18:19]
	global_store_b64 v[20:21], v[18:19], off
	s_wait_xcnt 0x0
	s_or_b32 exec_lo, exec_lo, s6
	s_nor_b32 s6, s4, s3
	s_delay_alu instid0(SALU_CYCLE_1)
	s_and_saveexec_b32 s4, s6
	s_cbranch_execz .LBB3_2
.LBB3_19:                               ;   in Loop: Header=BB3_3 Depth=1
	ds_load_b64 v[18:19], v17 offset:192
	v_lshl_add_u64 v[12:13], v[10:11], 3, v[12:13]
	s_wait_dscnt 0x0
	s_wait_kmcnt 0x0
	v_mul_f64_e32 v[18:19], s[14:15], v[18:19]
	global_store_b64 v[12:13], v[18:19], off
	s_branch .LBB3_2
.LBB3_20:
	s_endpgm
	.section	.rodata,"a",@progbits
	.p2align	6, 0x0
	.amdhsa_kernel _ZN9rocsparseL22dense_transpose_kernelILj32ELj8EidPKdEEvT1_S3_T3_PKT2_lPS5_l
		.amdhsa_group_segment_fixed_size 8192
		.amdhsa_private_segment_fixed_size 0
		.amdhsa_kernarg_size 48
		.amdhsa_user_sgpr_count 2
		.amdhsa_user_sgpr_dispatch_ptr 0
		.amdhsa_user_sgpr_queue_ptr 0
		.amdhsa_user_sgpr_kernarg_segment_ptr 1
		.amdhsa_user_sgpr_dispatch_id 0
		.amdhsa_user_sgpr_kernarg_preload_length 0
		.amdhsa_user_sgpr_kernarg_preload_offset 0
		.amdhsa_user_sgpr_private_segment_size 0
		.amdhsa_wavefront_size32 1
		.amdhsa_uses_dynamic_stack 0
		.amdhsa_enable_private_segment 0
		.amdhsa_system_sgpr_workgroup_id_x 1
		.amdhsa_system_sgpr_workgroup_id_y 0
		.amdhsa_system_sgpr_workgroup_id_z 0
		.amdhsa_system_sgpr_workgroup_info 0
		.amdhsa_system_vgpr_workitem_id 0
		.amdhsa_next_free_vgpr 22
		.amdhsa_next_free_sgpr 17
		.amdhsa_named_barrier_count 0
		.amdhsa_reserve_vcc 1
		.amdhsa_float_round_mode_32 0
		.amdhsa_float_round_mode_16_64 0
		.amdhsa_float_denorm_mode_32 3
		.amdhsa_float_denorm_mode_16_64 3
		.amdhsa_fp16_overflow 0
		.amdhsa_memory_ordered 1
		.amdhsa_forward_progress 1
		.amdhsa_inst_pref_size 8
		.amdhsa_round_robin_scheduling 0
		.amdhsa_exception_fp_ieee_invalid_op 0
		.amdhsa_exception_fp_denorm_src 0
		.amdhsa_exception_fp_ieee_div_zero 0
		.amdhsa_exception_fp_ieee_overflow 0
		.amdhsa_exception_fp_ieee_underflow 0
		.amdhsa_exception_fp_ieee_inexact 0
		.amdhsa_exception_int_div_zero 0
	.end_amdhsa_kernel
	.section	.text._ZN9rocsparseL22dense_transpose_kernelILj32ELj8EidPKdEEvT1_S3_T3_PKT2_lPS5_l,"axG",@progbits,_ZN9rocsparseL22dense_transpose_kernelILj32ELj8EidPKdEEvT1_S3_T3_PKT2_lPS5_l,comdat
.Lfunc_end3:
	.size	_ZN9rocsparseL22dense_transpose_kernelILj32ELj8EidPKdEEvT1_S3_T3_PKT2_lPS5_l, .Lfunc_end3-_ZN9rocsparseL22dense_transpose_kernelILj32ELj8EidPKdEEvT1_S3_T3_PKT2_lPS5_l
                                        ; -- End function
	.set _ZN9rocsparseL22dense_transpose_kernelILj32ELj8EidPKdEEvT1_S3_T3_PKT2_lPS5_l.num_vgpr, 22
	.set _ZN9rocsparseL22dense_transpose_kernelILj32ELj8EidPKdEEvT1_S3_T3_PKT2_lPS5_l.num_agpr, 0
	.set _ZN9rocsparseL22dense_transpose_kernelILj32ELj8EidPKdEEvT1_S3_T3_PKT2_lPS5_l.numbered_sgpr, 17
	.set _ZN9rocsparseL22dense_transpose_kernelILj32ELj8EidPKdEEvT1_S3_T3_PKT2_lPS5_l.num_named_barrier, 0
	.set _ZN9rocsparseL22dense_transpose_kernelILj32ELj8EidPKdEEvT1_S3_T3_PKT2_lPS5_l.private_seg_size, 0
	.set _ZN9rocsparseL22dense_transpose_kernelILj32ELj8EidPKdEEvT1_S3_T3_PKT2_lPS5_l.uses_vcc, 1
	.set _ZN9rocsparseL22dense_transpose_kernelILj32ELj8EidPKdEEvT1_S3_T3_PKT2_lPS5_l.uses_flat_scratch, 0
	.set _ZN9rocsparseL22dense_transpose_kernelILj32ELj8EidPKdEEvT1_S3_T3_PKT2_lPS5_l.has_dyn_sized_stack, 0
	.set _ZN9rocsparseL22dense_transpose_kernelILj32ELj8EidPKdEEvT1_S3_T3_PKT2_lPS5_l.has_recursion, 0
	.set _ZN9rocsparseL22dense_transpose_kernelILj32ELj8EidPKdEEvT1_S3_T3_PKT2_lPS5_l.has_indirect_call, 0
	.section	.AMDGPU.csdata,"",@progbits
; Kernel info:
; codeLenInByte = 948
; TotalNumSgprs: 19
; NumVgprs: 22
; ScratchSize: 0
; MemoryBound: 0
; FloatMode: 240
; IeeeMode: 1
; LDSByteSize: 8192 bytes/workgroup (compile time only)
; SGPRBlocks: 0
; VGPRBlocks: 1
; NumSGPRsForWavesPerEU: 19
; NumVGPRsForWavesPerEU: 22
; NamedBarCnt: 0
; Occupancy: 16
; WaveLimiterHint : 0
; COMPUTE_PGM_RSRC2:SCRATCH_EN: 0
; COMPUTE_PGM_RSRC2:USER_SGPR: 2
; COMPUTE_PGM_RSRC2:TRAP_HANDLER: 0
; COMPUTE_PGM_RSRC2:TGID_X_EN: 1
; COMPUTE_PGM_RSRC2:TGID_Y_EN: 0
; COMPUTE_PGM_RSRC2:TGID_Z_EN: 0
; COMPUTE_PGM_RSRC2:TIDIG_COMP_CNT: 0
	.section	.text._ZN9rocsparseL22dense_transpose_kernelILj32ELj8Ei21rocsparse_complex_numIfES2_EEvT1_S3_T3_PKT2_lPS5_l,"axG",@progbits,_ZN9rocsparseL22dense_transpose_kernelILj32ELj8Ei21rocsparse_complex_numIfES2_EEvT1_S3_T3_PKT2_lPS5_l,comdat
	.globl	_ZN9rocsparseL22dense_transpose_kernelILj32ELj8Ei21rocsparse_complex_numIfES2_EEvT1_S3_T3_PKT2_lPS5_l ; -- Begin function _ZN9rocsparseL22dense_transpose_kernelILj32ELj8Ei21rocsparse_complex_numIfES2_EEvT1_S3_T3_PKT2_lPS5_l
	.p2align	8
	.type	_ZN9rocsparseL22dense_transpose_kernelILj32ELj8Ei21rocsparse_complex_numIfES2_EEvT1_S3_T3_PKT2_lPS5_l,@function
_ZN9rocsparseL22dense_transpose_kernelILj32ELj8Ei21rocsparse_complex_numIfES2_EEvT1_S3_T3_PKT2_lPS5_l: ; @_ZN9rocsparseL22dense_transpose_kernelILj32ELj8Ei21rocsparse_complex_numIfES2_EEvT1_S3_T3_PKT2_lPS5_l
; %bb.0:
	s_load_b128 s[12:15], s[0:1], 0x0
	s_wait_kmcnt 0x0
	s_cmp_lt_i32 s13, 1
	s_cbranch_scc1 .LBB4_20
; %bb.1:
	s_load_b256 s[4:11], s[0:1], 0x10
	s_bfe_u32 s2, ttmp6, 0x4000c
	s_wait_xcnt 0x0
	s_and_b32 s0, ttmp6, 15
	s_add_co_i32 s2, s2, 1
	v_dual_mov_b32 v3, 0 :: v_dual_lshrrev_b32 v14, 5, v0
	s_mul_i32 s1, ttmp9, s2
	s_getreg_b32 s2, hwreg(HW_REG_IB_STS2, 6, 4)
	s_add_co_i32 s0, s0, s1
	s_cmp_eq_u32 s2, 0
	v_dual_lshlrev_b32 v17, 3, v14 :: v_dual_bitop2_b32 v15, 31, v0 bitop3:0x40
	s_cselect_b32 s0, ttmp9, s0
	v_mov_b32_e32 v13, v3
	s_lshl_b32 s0, s0, 5
	s_delay_alu instid0(SALU_CYCLE_1) | instskip(SKIP_2) | instid1(VALU_DEP_3)
	v_dual_mov_b32 v19, v3 :: v_dual_bitop2_b32 v2, s0, v14 bitop3:0x54
	v_or_b32_e32 v0, s0, v15
	v_lshl_or_b32 v17, v15, 8, v17
	v_cmp_le_u32_e32 vcc_lo, s12, v2
	v_or_b32_e32 v12, 8, v2
	s_delay_alu instid0(VALU_DEP_4)
	v_dual_ashrrev_i32 v1, 31, v0 :: v_dual_bitop2_b32 v18, 16, v2 bitop3:0x54
	s_wait_kmcnt 0x0
	v_mul_u64_e32 v[4:5], s[10:11], v[2:3]
	v_or_b32_e32 v2, 24, v2
	v_mul_u64_e32 v[6:7], s[10:11], v[12:13]
	v_mul_u64_e32 v[8:9], s[10:11], v[18:19]
	v_lshlrev_b32_e32 v13, 3, v15
	v_cmp_gt_i32_e64 s0, s12, v0
	v_mul_u64_e32 v[10:11], s[10:11], v[2:3]
	v_lshl_add_u64 v[0:1], v[0:1], 3, s[4:5]
	v_cmp_le_u32_e64 s1, s12, v12
	v_lshl_or_b32 v16, v14, 8, v13
	v_cmp_le_u32_e64 s2, s12, v18
	v_cmp_le_u32_e64 s3, s12, v2
	s_mov_b32 s5, 0
	s_xor_b32 s10, s15, 0x80000000
	s_mov_b32 s11, s14
	s_branch .LBB4_3
.LBB4_2:                                ;   in Loop: Header=BB4_3 Depth=1
	s_wait_xcnt 0x0
	s_or_b32 exec_lo, exec_lo, s4
	s_add_co_i32 s5, s5, 32
	s_delay_alu instid0(SALU_CYCLE_1)
	s_cmp_lt_i32 s5, s13
	s_cbranch_scc0 .LBB4_20
.LBB4_3:                                ; =>This Inner Loop Header: Depth=1
	v_add_nc_u32_e32 v2, s5, v14
	s_barrier_signal -1
	s_barrier_wait -1
	s_delay_alu instid0(VALU_DEP_1) | instskip(SKIP_1) | instid1(SALU_CYCLE_1)
	v_cmp_gt_u32_e64 s4, s13, v2
	s_and_b32 s12, s0, s4
	s_and_saveexec_b32 s4, s12
	s_cbranch_execz .LBB4_5
; %bb.4:                                ;   in Loop: Header=BB4_3 Depth=1
	v_mul_u64_e32 v[12:13], s[6:7], v[2:3]
	s_delay_alu instid0(VALU_DEP_1)
	v_lshl_add_u64 v[12:13], v[12:13], 3, v[0:1]
	global_load_b64 v[12:13], v[12:13], off
	s_wait_loadcnt 0x0
	ds_store_b64 v16, v[12:13]
.LBB4_5:                                ;   in Loop: Header=BB4_3 Depth=1
	s_wait_xcnt 0x0
	s_or_b32 exec_lo, exec_lo, s4
	s_and_saveexec_b32 s12, s0
	s_cbranch_execz .LBB4_12
; %bb.6:                                ;   in Loop: Header=BB4_3 Depth=1
	v_add_nc_u32_e32 v12, 8, v2
	s_mov_b32 s16, exec_lo
	s_delay_alu instid0(VALU_DEP_1)
	v_cmpx_gt_u32_e64 s13, v12
	s_cbranch_execz .LBB4_8
; %bb.7:                                ;   in Loop: Header=BB4_3 Depth=1
	v_mov_b32_e32 v13, v3
	s_delay_alu instid0(VALU_DEP_1) | instskip(NEXT) | instid1(VALU_DEP_1)
	v_mul_u64_e32 v[12:13], s[6:7], v[12:13]
	v_lshl_add_u64 v[12:13], v[12:13], 3, v[0:1]
	global_load_b64 v[12:13], v[12:13], off
	s_wait_loadcnt 0x0
	ds_store_b64 v16, v[12:13] offset:2048
.LBB4_8:                                ;   in Loop: Header=BB4_3 Depth=1
	s_wait_xcnt 0x0
	s_or_b32 exec_lo, exec_lo, s16
	v_add_nc_u32_e32 v12, 16, v2
	s_mov_b32 s16, exec_lo
	s_delay_alu instid0(VALU_DEP_1)
	v_cmpx_gt_u32_e64 s13, v12
	s_cbranch_execz .LBB4_10
; %bb.9:                                ;   in Loop: Header=BB4_3 Depth=1
	v_mov_b32_e32 v13, v3
	s_delay_alu instid0(VALU_DEP_1) | instskip(NEXT) | instid1(VALU_DEP_1)
	v_mul_u64_e32 v[12:13], s[6:7], v[12:13]
	v_lshl_add_u64 v[12:13], v[12:13], 3, v[0:1]
	global_load_b64 v[12:13], v[12:13], off
	s_wait_loadcnt 0x0
	ds_store_b64 v16, v[12:13] offset:4096
.LBB4_10:                               ;   in Loop: Header=BB4_3 Depth=1
	s_wait_xcnt 0x0
	s_or_b32 exec_lo, exec_lo, s16
	v_add_nc_u32_e32 v2, 24, v2
	s_delay_alu instid0(VALU_DEP_1)
	v_cmp_gt_u32_e64 s4, s13, v2
	s_and_b32 exec_lo, exec_lo, s4
	s_cbranch_execz .LBB4_12
; %bb.11:                               ;   in Loop: Header=BB4_3 Depth=1
	v_mul_u64_e32 v[12:13], s[6:7], v[2:3]
	s_delay_alu instid0(VALU_DEP_1)
	v_lshl_add_u64 v[12:13], v[12:13], 3, v[0:1]
	global_load_b64 v[12:13], v[12:13], off
	s_wait_loadcnt 0x0
	ds_store_b64 v16, v[12:13] offset:6144
.LBB4_12:                               ;   in Loop: Header=BB4_3 Depth=1
	s_wait_xcnt 0x0
	s_or_b32 exec_lo, exec_lo, s12
	v_add_nc_u32_e32 v12, s5, v15
	s_wait_dscnt 0x0
	s_barrier_signal -1
	s_barrier_wait -1
	s_delay_alu instid0(VALU_DEP_1) | instskip(SKIP_1) | instid1(VALU_DEP_2)
	v_ashrrev_i32_e32 v13, 31, v12
	v_cmp_le_i32_e64 s4, s13, v12
	v_lshl_add_u64 v[12:13], v[12:13], 3, s[8:9]
	s_nor_b32 s16, s4, vcc_lo
	s_delay_alu instid0(SALU_CYCLE_1)
	s_and_saveexec_b32 s12, s16
	s_cbranch_execnz .LBB4_16
; %bb.13:                               ;   in Loop: Header=BB4_3 Depth=1
	s_or_b32 exec_lo, exec_lo, s12
	s_nor_b32 s16, s4, s1
	s_delay_alu instid0(SALU_CYCLE_1)
	s_and_saveexec_b32 s12, s16
	s_cbranch_execnz .LBB4_17
.LBB4_14:                               ;   in Loop: Header=BB4_3 Depth=1
	s_or_b32 exec_lo, exec_lo, s12
	s_nor_b32 s16, s4, s2
	s_delay_alu instid0(SALU_CYCLE_1)
	s_and_saveexec_b32 s12, s16
	s_cbranch_execnz .LBB4_18
.LBB4_15:                               ;   in Loop: Header=BB4_3 Depth=1
	s_or_b32 exec_lo, exec_lo, s12
	s_nor_b32 s12, s4, s3
	s_delay_alu instid0(SALU_CYCLE_1)
	s_and_saveexec_b32 s4, s12
	s_cbranch_execz .LBB4_2
	s_branch .LBB4_19
.LBB4_16:                               ;   in Loop: Header=BB4_3 Depth=1
	ds_load_b64 v[18:19], v17
	v_mov_b64_e32 v[20:21], s[10:11]
	v_mov_b64_e32 v[22:23], s[14:15]
	v_lshl_add_u64 v[24:25], v[4:5], 3, v[12:13]
	s_wait_dscnt 0x0
	s_delay_alu instid0(VALU_DEP_3) | instskip(NEXT) | instid1(VALU_DEP_1)
	v_pk_mul_f32 v[20:21], v[18:19], v[20:21] op_sel:[1,0]
	v_pk_fma_f32 v[18:19], v[22:23], v[18:19], v[20:21] op_sel_hi:[1,0,1]
	global_store_b64 v[24:25], v[18:19], off
	s_wait_xcnt 0x0
	s_or_b32 exec_lo, exec_lo, s12
	s_nor_b32 s16, s4, s1
	s_delay_alu instid0(SALU_CYCLE_1)
	s_and_saveexec_b32 s12, s16
	s_cbranch_execz .LBB4_14
.LBB4_17:                               ;   in Loop: Header=BB4_3 Depth=1
	ds_load_b64 v[18:19], v17 offset:64
	v_mov_b64_e32 v[20:21], s[10:11]
	v_mov_b64_e32 v[22:23], s[14:15]
	v_lshl_add_u64 v[24:25], v[6:7], 3, v[12:13]
	s_wait_dscnt 0x0
	s_delay_alu instid0(VALU_DEP_3) | instskip(NEXT) | instid1(VALU_DEP_1)
	v_pk_mul_f32 v[20:21], v[18:19], v[20:21] op_sel:[1,0]
	v_pk_fma_f32 v[18:19], v[22:23], v[18:19], v[20:21] op_sel_hi:[1,0,1]
	global_store_b64 v[24:25], v[18:19], off
	s_wait_xcnt 0x0
	s_or_b32 exec_lo, exec_lo, s12
	s_nor_b32 s16, s4, s2
	s_delay_alu instid0(SALU_CYCLE_1)
	s_and_saveexec_b32 s12, s16
	s_cbranch_execz .LBB4_15
.LBB4_18:                               ;   in Loop: Header=BB4_3 Depth=1
	ds_load_b64 v[18:19], v17 offset:128
	v_mov_b64_e32 v[20:21], s[10:11]
	v_mov_b64_e32 v[22:23], s[14:15]
	v_lshl_add_u64 v[24:25], v[8:9], 3, v[12:13]
	s_wait_dscnt 0x0
	s_delay_alu instid0(VALU_DEP_3) | instskip(NEXT) | instid1(VALU_DEP_1)
	v_pk_mul_f32 v[20:21], v[18:19], v[20:21] op_sel:[1,0]
	v_pk_fma_f32 v[18:19], v[22:23], v[18:19], v[20:21] op_sel_hi:[1,0,1]
	global_store_b64 v[24:25], v[18:19], off
	s_wait_xcnt 0x0
	s_or_b32 exec_lo, exec_lo, s12
	s_nor_b32 s12, s4, s3
	s_delay_alu instid0(SALU_CYCLE_1)
	s_and_saveexec_b32 s4, s12
	s_cbranch_execz .LBB4_2
.LBB4_19:                               ;   in Loop: Header=BB4_3 Depth=1
	ds_load_b64 v[18:19], v17 offset:192
	v_mov_b64_e32 v[20:21], s[10:11]
	v_mov_b64_e32 v[22:23], s[14:15]
	v_lshl_add_u64 v[12:13], v[10:11], 3, v[12:13]
	s_wait_dscnt 0x0
	s_delay_alu instid0(VALU_DEP_3) | instskip(NEXT) | instid1(VALU_DEP_1)
	v_pk_mul_f32 v[20:21], v[18:19], v[20:21] op_sel:[1,0]
	v_pk_fma_f32 v[18:19], v[22:23], v[18:19], v[20:21] op_sel_hi:[1,0,1]
	global_store_b64 v[12:13], v[18:19], off
	s_branch .LBB4_2
.LBB4_20:
	s_endpgm
	.section	.rodata,"a",@progbits
	.p2align	6, 0x0
	.amdhsa_kernel _ZN9rocsparseL22dense_transpose_kernelILj32ELj8Ei21rocsparse_complex_numIfES2_EEvT1_S3_T3_PKT2_lPS5_l
		.amdhsa_group_segment_fixed_size 8192
		.amdhsa_private_segment_fixed_size 0
		.amdhsa_kernarg_size 48
		.amdhsa_user_sgpr_count 2
		.amdhsa_user_sgpr_dispatch_ptr 0
		.amdhsa_user_sgpr_queue_ptr 0
		.amdhsa_user_sgpr_kernarg_segment_ptr 1
		.amdhsa_user_sgpr_dispatch_id 0
		.amdhsa_user_sgpr_kernarg_preload_length 0
		.amdhsa_user_sgpr_kernarg_preload_offset 0
		.amdhsa_user_sgpr_private_segment_size 0
		.amdhsa_wavefront_size32 1
		.amdhsa_uses_dynamic_stack 0
		.amdhsa_enable_private_segment 0
		.amdhsa_system_sgpr_workgroup_id_x 1
		.amdhsa_system_sgpr_workgroup_id_y 0
		.amdhsa_system_sgpr_workgroup_id_z 0
		.amdhsa_system_sgpr_workgroup_info 0
		.amdhsa_system_vgpr_workitem_id 0
		.amdhsa_next_free_vgpr 26
		.amdhsa_next_free_sgpr 17
		.amdhsa_named_barrier_count 0
		.amdhsa_reserve_vcc 1
		.amdhsa_float_round_mode_32 0
		.amdhsa_float_round_mode_16_64 0
		.amdhsa_float_denorm_mode_32 3
		.amdhsa_float_denorm_mode_16_64 3
		.amdhsa_fp16_overflow 0
		.amdhsa_memory_ordered 1
		.amdhsa_forward_progress 1
		.amdhsa_inst_pref_size 8
		.amdhsa_round_robin_scheduling 0
		.amdhsa_exception_fp_ieee_invalid_op 0
		.amdhsa_exception_fp_denorm_src 0
		.amdhsa_exception_fp_ieee_div_zero 0
		.amdhsa_exception_fp_ieee_overflow 0
		.amdhsa_exception_fp_ieee_underflow 0
		.amdhsa_exception_fp_ieee_inexact 0
		.amdhsa_exception_int_div_zero 0
	.end_amdhsa_kernel
	.section	.text._ZN9rocsparseL22dense_transpose_kernelILj32ELj8Ei21rocsparse_complex_numIfES2_EEvT1_S3_T3_PKT2_lPS5_l,"axG",@progbits,_ZN9rocsparseL22dense_transpose_kernelILj32ELj8Ei21rocsparse_complex_numIfES2_EEvT1_S3_T3_PKT2_lPS5_l,comdat
.Lfunc_end4:
	.size	_ZN9rocsparseL22dense_transpose_kernelILj32ELj8Ei21rocsparse_complex_numIfES2_EEvT1_S3_T3_PKT2_lPS5_l, .Lfunc_end4-_ZN9rocsparseL22dense_transpose_kernelILj32ELj8Ei21rocsparse_complex_numIfES2_EEvT1_S3_T3_PKT2_lPS5_l
                                        ; -- End function
	.set _ZN9rocsparseL22dense_transpose_kernelILj32ELj8Ei21rocsparse_complex_numIfES2_EEvT1_S3_T3_PKT2_lPS5_l.num_vgpr, 26
	.set _ZN9rocsparseL22dense_transpose_kernelILj32ELj8Ei21rocsparse_complex_numIfES2_EEvT1_S3_T3_PKT2_lPS5_l.num_agpr, 0
	.set _ZN9rocsparseL22dense_transpose_kernelILj32ELj8Ei21rocsparse_complex_numIfES2_EEvT1_S3_T3_PKT2_lPS5_l.numbered_sgpr, 17
	.set _ZN9rocsparseL22dense_transpose_kernelILj32ELj8Ei21rocsparse_complex_numIfES2_EEvT1_S3_T3_PKT2_lPS5_l.num_named_barrier, 0
	.set _ZN9rocsparseL22dense_transpose_kernelILj32ELj8Ei21rocsparse_complex_numIfES2_EEvT1_S3_T3_PKT2_lPS5_l.private_seg_size, 0
	.set _ZN9rocsparseL22dense_transpose_kernelILj32ELj8Ei21rocsparse_complex_numIfES2_EEvT1_S3_T3_PKT2_lPS5_l.uses_vcc, 1
	.set _ZN9rocsparseL22dense_transpose_kernelILj32ELj8Ei21rocsparse_complex_numIfES2_EEvT1_S3_T3_PKT2_lPS5_l.uses_flat_scratch, 0
	.set _ZN9rocsparseL22dense_transpose_kernelILj32ELj8Ei21rocsparse_complex_numIfES2_EEvT1_S3_T3_PKT2_lPS5_l.has_dyn_sized_stack, 0
	.set _ZN9rocsparseL22dense_transpose_kernelILj32ELj8Ei21rocsparse_complex_numIfES2_EEvT1_S3_T3_PKT2_lPS5_l.has_recursion, 0
	.set _ZN9rocsparseL22dense_transpose_kernelILj32ELj8Ei21rocsparse_complex_numIfES2_EEvT1_S3_T3_PKT2_lPS5_l.has_indirect_call, 0
	.section	.AMDGPU.csdata,"",@progbits
; Kernel info:
; codeLenInByte = 1024
; TotalNumSgprs: 19
; NumVgprs: 26
; ScratchSize: 0
; MemoryBound: 0
; FloatMode: 240
; IeeeMode: 1
; LDSByteSize: 8192 bytes/workgroup (compile time only)
; SGPRBlocks: 0
; VGPRBlocks: 1
; NumSGPRsForWavesPerEU: 19
; NumVGPRsForWavesPerEU: 26
; NamedBarCnt: 0
; Occupancy: 16
; WaveLimiterHint : 0
; COMPUTE_PGM_RSRC2:SCRATCH_EN: 0
; COMPUTE_PGM_RSRC2:USER_SGPR: 2
; COMPUTE_PGM_RSRC2:TRAP_HANDLER: 0
; COMPUTE_PGM_RSRC2:TGID_X_EN: 1
; COMPUTE_PGM_RSRC2:TGID_Y_EN: 0
; COMPUTE_PGM_RSRC2:TGID_Z_EN: 0
; COMPUTE_PGM_RSRC2:TIDIG_COMP_CNT: 0
	.section	.text._ZN9rocsparseL22dense_transpose_kernelILj32ELj8Ei21rocsparse_complex_numIfEPKS2_EEvT1_S5_T3_PKT2_lPS7_l,"axG",@progbits,_ZN9rocsparseL22dense_transpose_kernelILj32ELj8Ei21rocsparse_complex_numIfEPKS2_EEvT1_S5_T3_PKT2_lPS7_l,comdat
	.globl	_ZN9rocsparseL22dense_transpose_kernelILj32ELj8Ei21rocsparse_complex_numIfEPKS2_EEvT1_S5_T3_PKT2_lPS7_l ; -- Begin function _ZN9rocsparseL22dense_transpose_kernelILj32ELj8Ei21rocsparse_complex_numIfEPKS2_EEvT1_S5_T3_PKT2_lPS7_l
	.p2align	8
	.type	_ZN9rocsparseL22dense_transpose_kernelILj32ELj8Ei21rocsparse_complex_numIfEPKS2_EEvT1_S5_T3_PKT2_lPS7_l,@function
_ZN9rocsparseL22dense_transpose_kernelILj32ELj8Ei21rocsparse_complex_numIfEPKS2_EEvT1_S5_T3_PKT2_lPS7_l: ; @_ZN9rocsparseL22dense_transpose_kernelILj32ELj8Ei21rocsparse_complex_numIfEPKS2_EEvT1_S5_T3_PKT2_lPS7_l
; %bb.0:
	s_load_b64 s[12:13], s[0:1], 0x0
	s_wait_kmcnt 0x0
	s_cmp_lt_i32 s13, 1
	s_cbranch_scc1 .LBB5_20
; %bb.1:
	s_load_b64 s[2:3], s[0:1], 0x28
	s_bfe_u32 s4, ttmp6, 0x4000c
	s_and_b32 s5, ttmp6, 15
	s_add_co_i32 s4, s4, 1
	s_getreg_b32 s6, hwreg(HW_REG_IB_STS2, 6, 4)
	s_mul_i32 s4, ttmp9, s4
	v_dual_mov_b32 v3, 0 :: v_dual_lshrrev_b32 v14, 5, v0
	s_add_co_i32 s5, s5, s4
	s_cmp_eq_u32 s6, 0
	s_delay_alu instid0(VALU_DEP_1)
	v_dual_lshlrev_b32 v17, 3, v14 :: v_dual_bitop2_b32 v15, 31, v0 bitop3:0x40
	s_cselect_b32 s4, ttmp9, s5
	v_mov_b32_e32 v13, v3
	s_lshl_b32 s16, s4, 5
	s_load_b256 s[4:11], s[0:1], 0x8
	v_dual_mov_b32 v19, v3 :: v_dual_bitop2_b32 v2, s16, v14 bitop3:0x54
	v_or_b32_e32 v0, s16, v15
	v_lshl_or_b32 v17, v15, 8, v17
	s_delay_alu instid0(VALU_DEP_3) | instskip(SKIP_1) | instid1(VALU_DEP_4)
	v_cmp_le_u32_e32 vcc_lo, s12, v2
	v_or_b32_e32 v12, 8, v2
	v_dual_ashrrev_i32 v1, 31, v0 :: v_dual_bitop2_b32 v18, 16, v2 bitop3:0x54
	s_wait_kmcnt 0x0
	v_mul_u64_e32 v[4:5], s[2:3], v[2:3]
	v_or_b32_e32 v2, 24, v2
	v_mul_u64_e32 v[6:7], s[2:3], v[12:13]
	v_mul_u64_e32 v[8:9], s[2:3], v[18:19]
	v_lshlrev_b32_e32 v13, 3, v15
	v_cmp_gt_i32_e64 s0, s12, v0
	v_mul_u64_e32 v[10:11], s[2:3], v[2:3]
	v_cmp_le_u32_e64 s1, s12, v12
	v_cmp_le_u32_e64 s2, s12, v18
	v_lshl_or_b32 v16, v14, 8, v13
	s_load_b64 s[14:15], s[4:5], 0x0
	v_lshl_add_u64 v[0:1], v[0:1], 3, s[6:7]
	v_cmp_le_u32_e64 s3, s12, v2
	s_wait_xcnt 0x0
	s_mov_b32 s5, 0
	s_wait_kmcnt 0x0
	s_xor_b32 s6, s15, 0x80000000
	s_mov_b32 s7, s14
	s_branch .LBB5_3
.LBB5_2:                                ;   in Loop: Header=BB5_3 Depth=1
	s_wait_xcnt 0x0
	s_or_b32 exec_lo, exec_lo, s4
	s_add_co_i32 s5, s5, 32
	s_delay_alu instid0(SALU_CYCLE_1)
	s_cmp_lt_i32 s5, s13
	s_cbranch_scc0 .LBB5_20
.LBB5_3:                                ; =>This Inner Loop Header: Depth=1
	v_add_nc_u32_e32 v2, s5, v14
	s_barrier_signal -1
	s_barrier_wait -1
	s_delay_alu instid0(VALU_DEP_1) | instskip(SKIP_1) | instid1(SALU_CYCLE_1)
	v_cmp_gt_u32_e64 s4, s13, v2
	s_and_b32 s12, s0, s4
	s_and_saveexec_b32 s4, s12
	s_cbranch_execz .LBB5_5
; %bb.4:                                ;   in Loop: Header=BB5_3 Depth=1
	v_mul_u64_e32 v[12:13], s[8:9], v[2:3]
	s_delay_alu instid0(VALU_DEP_1)
	v_lshl_add_u64 v[12:13], v[12:13], 3, v[0:1]
	global_load_b64 v[12:13], v[12:13], off
	s_wait_loadcnt 0x0
	ds_store_b64 v16, v[12:13]
.LBB5_5:                                ;   in Loop: Header=BB5_3 Depth=1
	s_wait_xcnt 0x0
	s_or_b32 exec_lo, exec_lo, s4
	s_and_saveexec_b32 s12, s0
	s_cbranch_execz .LBB5_12
; %bb.6:                                ;   in Loop: Header=BB5_3 Depth=1
	v_add_nc_u32_e32 v12, 8, v2
	s_mov_b32 s16, exec_lo
	s_delay_alu instid0(VALU_DEP_1)
	v_cmpx_gt_u32_e64 s13, v12
	s_cbranch_execz .LBB5_8
; %bb.7:                                ;   in Loop: Header=BB5_3 Depth=1
	v_mov_b32_e32 v13, v3
	s_delay_alu instid0(VALU_DEP_1) | instskip(NEXT) | instid1(VALU_DEP_1)
	v_mul_u64_e32 v[12:13], s[8:9], v[12:13]
	v_lshl_add_u64 v[12:13], v[12:13], 3, v[0:1]
	global_load_b64 v[12:13], v[12:13], off
	s_wait_loadcnt 0x0
	ds_store_b64 v16, v[12:13] offset:2048
.LBB5_8:                                ;   in Loop: Header=BB5_3 Depth=1
	s_wait_xcnt 0x0
	s_or_b32 exec_lo, exec_lo, s16
	v_add_nc_u32_e32 v12, 16, v2
	s_mov_b32 s16, exec_lo
	s_delay_alu instid0(VALU_DEP_1)
	v_cmpx_gt_u32_e64 s13, v12
	s_cbranch_execz .LBB5_10
; %bb.9:                                ;   in Loop: Header=BB5_3 Depth=1
	v_mov_b32_e32 v13, v3
	s_delay_alu instid0(VALU_DEP_1) | instskip(NEXT) | instid1(VALU_DEP_1)
	v_mul_u64_e32 v[12:13], s[8:9], v[12:13]
	v_lshl_add_u64 v[12:13], v[12:13], 3, v[0:1]
	global_load_b64 v[12:13], v[12:13], off
	s_wait_loadcnt 0x0
	ds_store_b64 v16, v[12:13] offset:4096
.LBB5_10:                               ;   in Loop: Header=BB5_3 Depth=1
	s_wait_xcnt 0x0
	s_or_b32 exec_lo, exec_lo, s16
	v_add_nc_u32_e32 v2, 24, v2
	s_delay_alu instid0(VALU_DEP_1)
	v_cmp_gt_u32_e64 s4, s13, v2
	s_and_b32 exec_lo, exec_lo, s4
	s_cbranch_execz .LBB5_12
; %bb.11:                               ;   in Loop: Header=BB5_3 Depth=1
	v_mul_u64_e32 v[12:13], s[8:9], v[2:3]
	s_delay_alu instid0(VALU_DEP_1)
	v_lshl_add_u64 v[12:13], v[12:13], 3, v[0:1]
	global_load_b64 v[12:13], v[12:13], off
	s_wait_loadcnt 0x0
	ds_store_b64 v16, v[12:13] offset:6144
.LBB5_12:                               ;   in Loop: Header=BB5_3 Depth=1
	s_wait_xcnt 0x0
	s_or_b32 exec_lo, exec_lo, s12
	v_add_nc_u32_e32 v12, s5, v15
	s_wait_dscnt 0x0
	s_barrier_signal -1
	s_barrier_wait -1
	s_delay_alu instid0(VALU_DEP_1) | instskip(SKIP_1) | instid1(VALU_DEP_2)
	v_ashrrev_i32_e32 v13, 31, v12
	v_cmp_le_i32_e64 s4, s13, v12
	v_lshl_add_u64 v[12:13], v[12:13], 3, s[10:11]
	s_nor_b32 s16, s4, vcc_lo
	s_delay_alu instid0(SALU_CYCLE_1)
	s_and_saveexec_b32 s12, s16
	s_cbranch_execnz .LBB5_16
; %bb.13:                               ;   in Loop: Header=BB5_3 Depth=1
	s_or_b32 exec_lo, exec_lo, s12
	s_nor_b32 s16, s4, s1
	s_delay_alu instid0(SALU_CYCLE_1)
	s_and_saveexec_b32 s12, s16
	s_cbranch_execnz .LBB5_17
.LBB5_14:                               ;   in Loop: Header=BB5_3 Depth=1
	s_or_b32 exec_lo, exec_lo, s12
	s_nor_b32 s16, s4, s2
	s_delay_alu instid0(SALU_CYCLE_1)
	s_and_saveexec_b32 s12, s16
	s_cbranch_execnz .LBB5_18
.LBB5_15:                               ;   in Loop: Header=BB5_3 Depth=1
	s_or_b32 exec_lo, exec_lo, s12
	s_nor_b32 s12, s4, s3
	s_delay_alu instid0(SALU_CYCLE_1)
	s_and_saveexec_b32 s4, s12
	s_cbranch_execz .LBB5_2
	s_branch .LBB5_19
.LBB5_16:                               ;   in Loop: Header=BB5_3 Depth=1
	ds_load_b64 v[18:19], v17
	v_mov_b64_e32 v[20:21], s[6:7]
	v_mov_b64_e32 v[22:23], s[14:15]
	v_lshl_add_u64 v[24:25], v[4:5], 3, v[12:13]
	s_wait_dscnt 0x0
	s_delay_alu instid0(VALU_DEP_3) | instskip(NEXT) | instid1(VALU_DEP_1)
	v_pk_mul_f32 v[20:21], v[18:19], v[20:21] op_sel:[1,0]
	v_pk_fma_f32 v[18:19], v[22:23], v[18:19], v[20:21] op_sel_hi:[1,0,1]
	global_store_b64 v[24:25], v[18:19], off
	s_wait_xcnt 0x0
	s_or_b32 exec_lo, exec_lo, s12
	s_nor_b32 s16, s4, s1
	s_delay_alu instid0(SALU_CYCLE_1)
	s_and_saveexec_b32 s12, s16
	s_cbranch_execz .LBB5_14
.LBB5_17:                               ;   in Loop: Header=BB5_3 Depth=1
	ds_load_b64 v[18:19], v17 offset:64
	v_mov_b64_e32 v[20:21], s[6:7]
	v_mov_b64_e32 v[22:23], s[14:15]
	v_lshl_add_u64 v[24:25], v[6:7], 3, v[12:13]
	s_wait_dscnt 0x0
	s_delay_alu instid0(VALU_DEP_3) | instskip(NEXT) | instid1(VALU_DEP_1)
	v_pk_mul_f32 v[20:21], v[18:19], v[20:21] op_sel:[1,0]
	v_pk_fma_f32 v[18:19], v[22:23], v[18:19], v[20:21] op_sel_hi:[1,0,1]
	global_store_b64 v[24:25], v[18:19], off
	s_wait_xcnt 0x0
	s_or_b32 exec_lo, exec_lo, s12
	s_nor_b32 s16, s4, s2
	s_delay_alu instid0(SALU_CYCLE_1)
	s_and_saveexec_b32 s12, s16
	s_cbranch_execz .LBB5_15
.LBB5_18:                               ;   in Loop: Header=BB5_3 Depth=1
	ds_load_b64 v[18:19], v17 offset:128
	v_mov_b64_e32 v[20:21], s[6:7]
	v_mov_b64_e32 v[22:23], s[14:15]
	v_lshl_add_u64 v[24:25], v[8:9], 3, v[12:13]
	s_wait_dscnt 0x0
	s_delay_alu instid0(VALU_DEP_3) | instskip(NEXT) | instid1(VALU_DEP_1)
	v_pk_mul_f32 v[20:21], v[18:19], v[20:21] op_sel:[1,0]
	v_pk_fma_f32 v[18:19], v[22:23], v[18:19], v[20:21] op_sel_hi:[1,0,1]
	global_store_b64 v[24:25], v[18:19], off
	s_wait_xcnt 0x0
	s_or_b32 exec_lo, exec_lo, s12
	s_nor_b32 s12, s4, s3
	s_delay_alu instid0(SALU_CYCLE_1)
	s_and_saveexec_b32 s4, s12
	s_cbranch_execz .LBB5_2
.LBB5_19:                               ;   in Loop: Header=BB5_3 Depth=1
	ds_load_b64 v[18:19], v17 offset:192
	v_mov_b64_e32 v[20:21], s[6:7]
	v_mov_b64_e32 v[22:23], s[14:15]
	v_lshl_add_u64 v[12:13], v[10:11], 3, v[12:13]
	s_wait_dscnt 0x0
	s_delay_alu instid0(VALU_DEP_3) | instskip(NEXT) | instid1(VALU_DEP_1)
	v_pk_mul_f32 v[20:21], v[18:19], v[20:21] op_sel:[1,0]
	v_pk_fma_f32 v[18:19], v[22:23], v[18:19], v[20:21] op_sel_hi:[1,0,1]
	global_store_b64 v[12:13], v[18:19], off
	s_branch .LBB5_2
.LBB5_20:
	s_endpgm
	.section	.rodata,"a",@progbits
	.p2align	6, 0x0
	.amdhsa_kernel _ZN9rocsparseL22dense_transpose_kernelILj32ELj8Ei21rocsparse_complex_numIfEPKS2_EEvT1_S5_T3_PKT2_lPS7_l
		.amdhsa_group_segment_fixed_size 8192
		.amdhsa_private_segment_fixed_size 0
		.amdhsa_kernarg_size 48
		.amdhsa_user_sgpr_count 2
		.amdhsa_user_sgpr_dispatch_ptr 0
		.amdhsa_user_sgpr_queue_ptr 0
		.amdhsa_user_sgpr_kernarg_segment_ptr 1
		.amdhsa_user_sgpr_dispatch_id 0
		.amdhsa_user_sgpr_kernarg_preload_length 0
		.amdhsa_user_sgpr_kernarg_preload_offset 0
		.amdhsa_user_sgpr_private_segment_size 0
		.amdhsa_wavefront_size32 1
		.amdhsa_uses_dynamic_stack 0
		.amdhsa_enable_private_segment 0
		.amdhsa_system_sgpr_workgroup_id_x 1
		.amdhsa_system_sgpr_workgroup_id_y 0
		.amdhsa_system_sgpr_workgroup_id_z 0
		.amdhsa_system_sgpr_workgroup_info 0
		.amdhsa_system_vgpr_workitem_id 0
		.amdhsa_next_free_vgpr 26
		.amdhsa_next_free_sgpr 17
		.amdhsa_named_barrier_count 0
		.amdhsa_reserve_vcc 1
		.amdhsa_float_round_mode_32 0
		.amdhsa_float_round_mode_16_64 0
		.amdhsa_float_denorm_mode_32 3
		.amdhsa_float_denorm_mode_16_64 3
		.amdhsa_fp16_overflow 0
		.amdhsa_memory_ordered 1
		.amdhsa_forward_progress 1
		.amdhsa_inst_pref_size 9
		.amdhsa_round_robin_scheduling 0
		.amdhsa_exception_fp_ieee_invalid_op 0
		.amdhsa_exception_fp_denorm_src 0
		.amdhsa_exception_fp_ieee_div_zero 0
		.amdhsa_exception_fp_ieee_overflow 0
		.amdhsa_exception_fp_ieee_underflow 0
		.amdhsa_exception_fp_ieee_inexact 0
		.amdhsa_exception_int_div_zero 0
	.end_amdhsa_kernel
	.section	.text._ZN9rocsparseL22dense_transpose_kernelILj32ELj8Ei21rocsparse_complex_numIfEPKS2_EEvT1_S5_T3_PKT2_lPS7_l,"axG",@progbits,_ZN9rocsparseL22dense_transpose_kernelILj32ELj8Ei21rocsparse_complex_numIfEPKS2_EEvT1_S5_T3_PKT2_lPS7_l,comdat
.Lfunc_end5:
	.size	_ZN9rocsparseL22dense_transpose_kernelILj32ELj8Ei21rocsparse_complex_numIfEPKS2_EEvT1_S5_T3_PKT2_lPS7_l, .Lfunc_end5-_ZN9rocsparseL22dense_transpose_kernelILj32ELj8Ei21rocsparse_complex_numIfEPKS2_EEvT1_S5_T3_PKT2_lPS7_l
                                        ; -- End function
	.set _ZN9rocsparseL22dense_transpose_kernelILj32ELj8Ei21rocsparse_complex_numIfEPKS2_EEvT1_S5_T3_PKT2_lPS7_l.num_vgpr, 26
	.set _ZN9rocsparseL22dense_transpose_kernelILj32ELj8Ei21rocsparse_complex_numIfEPKS2_EEvT1_S5_T3_PKT2_lPS7_l.num_agpr, 0
	.set _ZN9rocsparseL22dense_transpose_kernelILj32ELj8Ei21rocsparse_complex_numIfEPKS2_EEvT1_S5_T3_PKT2_lPS7_l.numbered_sgpr, 17
	.set _ZN9rocsparseL22dense_transpose_kernelILj32ELj8Ei21rocsparse_complex_numIfEPKS2_EEvT1_S5_T3_PKT2_lPS7_l.num_named_barrier, 0
	.set _ZN9rocsparseL22dense_transpose_kernelILj32ELj8Ei21rocsparse_complex_numIfEPKS2_EEvT1_S5_T3_PKT2_lPS7_l.private_seg_size, 0
	.set _ZN9rocsparseL22dense_transpose_kernelILj32ELj8Ei21rocsparse_complex_numIfEPKS2_EEvT1_S5_T3_PKT2_lPS7_l.uses_vcc, 1
	.set _ZN9rocsparseL22dense_transpose_kernelILj32ELj8Ei21rocsparse_complex_numIfEPKS2_EEvT1_S5_T3_PKT2_lPS7_l.uses_flat_scratch, 0
	.set _ZN9rocsparseL22dense_transpose_kernelILj32ELj8Ei21rocsparse_complex_numIfEPKS2_EEvT1_S5_T3_PKT2_lPS7_l.has_dyn_sized_stack, 0
	.set _ZN9rocsparseL22dense_transpose_kernelILj32ELj8Ei21rocsparse_complex_numIfEPKS2_EEvT1_S5_T3_PKT2_lPS7_l.has_recursion, 0
	.set _ZN9rocsparseL22dense_transpose_kernelILj32ELj8Ei21rocsparse_complex_numIfEPKS2_EEvT1_S5_T3_PKT2_lPS7_l.has_indirect_call, 0
	.section	.AMDGPU.csdata,"",@progbits
; Kernel info:
; codeLenInByte = 1044
; TotalNumSgprs: 19
; NumVgprs: 26
; ScratchSize: 0
; MemoryBound: 0
; FloatMode: 240
; IeeeMode: 1
; LDSByteSize: 8192 bytes/workgroup (compile time only)
; SGPRBlocks: 0
; VGPRBlocks: 1
; NumSGPRsForWavesPerEU: 19
; NumVGPRsForWavesPerEU: 26
; NamedBarCnt: 0
; Occupancy: 16
; WaveLimiterHint : 0
; COMPUTE_PGM_RSRC2:SCRATCH_EN: 0
; COMPUTE_PGM_RSRC2:USER_SGPR: 2
; COMPUTE_PGM_RSRC2:TRAP_HANDLER: 0
; COMPUTE_PGM_RSRC2:TGID_X_EN: 1
; COMPUTE_PGM_RSRC2:TGID_Y_EN: 0
; COMPUTE_PGM_RSRC2:TGID_Z_EN: 0
; COMPUTE_PGM_RSRC2:TIDIG_COMP_CNT: 0
	.section	.text._ZN9rocsparseL22dense_transpose_kernelILj32ELj8Ei21rocsparse_complex_numIdES2_EEvT1_S3_T3_PKT2_lPS5_l,"axG",@progbits,_ZN9rocsparseL22dense_transpose_kernelILj32ELj8Ei21rocsparse_complex_numIdES2_EEvT1_S3_T3_PKT2_lPS5_l,comdat
	.globl	_ZN9rocsparseL22dense_transpose_kernelILj32ELj8Ei21rocsparse_complex_numIdES2_EEvT1_S3_T3_PKT2_lPS5_l ; -- Begin function _ZN9rocsparseL22dense_transpose_kernelILj32ELj8Ei21rocsparse_complex_numIdES2_EEvT1_S3_T3_PKT2_lPS5_l
	.p2align	8
	.type	_ZN9rocsparseL22dense_transpose_kernelILj32ELj8Ei21rocsparse_complex_numIdES2_EEvT1_S3_T3_PKT2_lPS5_l,@function
_ZN9rocsparseL22dense_transpose_kernelILj32ELj8Ei21rocsparse_complex_numIdES2_EEvT1_S3_T3_PKT2_lPS5_l: ; @_ZN9rocsparseL22dense_transpose_kernelILj32ELj8Ei21rocsparse_complex_numIdES2_EEvT1_S3_T3_PKT2_lPS5_l
; %bb.0:
	s_load_b64 s[4:5], s[0:1], 0x0
	s_wait_kmcnt 0x0
	s_cmp_lt_i32 s5, 1
	s_cbranch_scc1 .LBB6_20
; %bb.1:
	s_load_b128 s[16:19], s[0:1], 0x28
	s_bfe_u32 s2, ttmp6, 0x4000c
	s_and_b32 s3, ttmp6, 15
	s_add_co_i32 s2, s2, 1
	s_getreg_b32 s6, hwreg(HW_REG_IB_STS2, 6, 4)
	s_mul_i32 s2, ttmp9, s2
	v_dual_mov_b32 v3, 0 :: v_dual_lshrrev_b32 v14, 5, v0
	s_add_co_i32 s3, s3, s2
	s_cmp_eq_u32 s6, 0
	s_delay_alu instid0(VALU_DEP_1)
	v_dual_lshlrev_b32 v17, 4, v14 :: v_dual_bitop2_b32 v15, 31, v0 bitop3:0x40
	s_cselect_b32 s2, ttmp9, s3
	v_mov_b32_e32 v13, v3
	s_lshl_b32 s2, s2, 5
	s_load_b256 s[8:15], s[0:1], 0x8
	v_dual_mov_b32 v23, v3 :: v_dual_bitop2_b32 v2, s2, v14 bitop3:0x54
	v_or_b32_e32 v0, s2, v15
	v_lshl_or_b32 v17, v15, 9, v17
	s_mov_b32 s6, 0
	s_delay_alu instid0(VALU_DEP_3)
	v_cmp_le_u32_e32 vcc_lo, s4, v2
	v_or_b32_e32 v12, 8, v2
	v_or_b32_e32 v22, 16, v2
	s_wait_kmcnt 0x0
	v_mul_u64_e32 v[4:5], s[18:19], v[2:3]
	v_dual_ashrrev_i32 v1, 31, v0 :: v_dual_bitop2_b32 v2, 24, v2 bitop3:0x54
	v_mul_u64_e32 v[6:7], s[18:19], v[12:13]
	v_lshlrev_b32_e32 v13, 4, v15
	v_mul_u64_e32 v[8:9], s[18:19], v[22:23]
	s_delay_alu instid0(VALU_DEP_4)
	v_mul_u64_e32 v[10:11], s[18:19], v[2:3]
	v_cmp_gt_i32_e64 s0, s4, v0
	v_cmp_le_u32_e64 s1, s4, v12
	v_lshl_or_b32 v16, v14, 9, v13
	v_cmp_le_u32_e64 s2, s4, v22
	v_lshl_add_u64 v[0:1], v[0:1], 4, s[12:13]
	v_cmp_le_u32_e64 s3, s4, v2
	s_delay_alu instid0(VALU_DEP_4)
	v_or_b32_e32 v18, 0x1000, v16
	v_or_b32_e32 v19, 0x2000, v16
	;; [unrolled: 1-line block ×3, first 2 shown]
	s_branch .LBB6_3
.LBB6_2:                                ;   in Loop: Header=BB6_3 Depth=1
	s_wait_xcnt 0x0
	s_or_b32 exec_lo, exec_lo, s4
	s_add_co_i32 s6, s6, 32
	s_delay_alu instid0(SALU_CYCLE_1)
	s_cmp_lt_i32 s6, s5
	s_cbranch_scc0 .LBB6_20
.LBB6_3:                                ; =>This Inner Loop Header: Depth=1
	v_add_nc_u32_e32 v2, s6, v14
	s_barrier_signal -1
	s_barrier_wait -1
	s_delay_alu instid0(VALU_DEP_1) | instskip(SKIP_1) | instid1(SALU_CYCLE_1)
	v_cmp_gt_u32_e64 s4, s5, v2
	s_and_b32 s7, s0, s4
	s_and_saveexec_b32 s4, s7
	s_cbranch_execz .LBB6_5
; %bb.4:                                ;   in Loop: Header=BB6_3 Depth=1
	v_mul_u64_e32 v[12:13], s[14:15], v[2:3]
	s_delay_alu instid0(VALU_DEP_1)
	v_lshl_add_u64 v[12:13], v[12:13], 4, v[0:1]
	global_load_b128 v[22:25], v[12:13], off
	s_wait_loadcnt 0x0
	ds_store_2addr_b64 v16, v[22:23], v[24:25] offset1:1
.LBB6_5:                                ;   in Loop: Header=BB6_3 Depth=1
	s_wait_xcnt 0x0
	s_or_b32 exec_lo, exec_lo, s4
	s_and_saveexec_b32 s7, s0
	s_cbranch_execz .LBB6_12
; %bb.6:                                ;   in Loop: Header=BB6_3 Depth=1
	v_add_nc_u32_e32 v12, 8, v2
	s_mov_b32 s12, exec_lo
	s_delay_alu instid0(VALU_DEP_1)
	v_cmpx_gt_u32_e64 s5, v12
	s_cbranch_execz .LBB6_8
; %bb.7:                                ;   in Loop: Header=BB6_3 Depth=1
	v_mov_b32_e32 v13, v3
	s_delay_alu instid0(VALU_DEP_1) | instskip(NEXT) | instid1(VALU_DEP_1)
	v_mul_u64_e32 v[12:13], s[14:15], v[12:13]
	v_lshl_add_u64 v[12:13], v[12:13], 4, v[0:1]
	global_load_b128 v[22:25], v[12:13], off
	s_wait_loadcnt 0x0
	ds_store_2addr_b64 v18, v[22:23], v[24:25] offset1:1
.LBB6_8:                                ;   in Loop: Header=BB6_3 Depth=1
	s_wait_xcnt 0x0
	s_or_b32 exec_lo, exec_lo, s12
	v_add_nc_u32_e32 v12, 16, v2
	s_mov_b32 s12, exec_lo
	s_delay_alu instid0(VALU_DEP_1)
	v_cmpx_gt_u32_e64 s5, v12
	s_cbranch_execz .LBB6_10
; %bb.9:                                ;   in Loop: Header=BB6_3 Depth=1
	v_mov_b32_e32 v13, v3
	s_delay_alu instid0(VALU_DEP_1) | instskip(NEXT) | instid1(VALU_DEP_1)
	v_mul_u64_e32 v[12:13], s[14:15], v[12:13]
	v_lshl_add_u64 v[12:13], v[12:13], 4, v[0:1]
	global_load_b128 v[22:25], v[12:13], off
	s_wait_loadcnt 0x0
	ds_store_2addr_b64 v19, v[22:23], v[24:25] offset1:1
.LBB6_10:                               ;   in Loop: Header=BB6_3 Depth=1
	s_wait_xcnt 0x0
	s_or_b32 exec_lo, exec_lo, s12
	v_add_nc_u32_e32 v2, 24, v2
	s_delay_alu instid0(VALU_DEP_1)
	v_cmp_gt_u32_e64 s4, s5, v2
	s_and_b32 exec_lo, exec_lo, s4
	s_cbranch_execz .LBB6_12
; %bb.11:                               ;   in Loop: Header=BB6_3 Depth=1
	v_mul_u64_e32 v[12:13], s[14:15], v[2:3]
	s_delay_alu instid0(VALU_DEP_1)
	v_lshl_add_u64 v[12:13], v[12:13], 4, v[0:1]
	global_load_b128 v[22:25], v[12:13], off
	s_wait_loadcnt 0x0
	ds_store_2addr_b64 v20, v[22:23], v[24:25] offset1:1
.LBB6_12:                               ;   in Loop: Header=BB6_3 Depth=1
	s_wait_xcnt 0x0
	s_or_b32 exec_lo, exec_lo, s7
	v_add_nc_u32_e32 v12, s6, v15
	s_wait_dscnt 0x0
	s_barrier_signal -1
	s_barrier_wait -1
	s_delay_alu instid0(VALU_DEP_1) | instskip(SKIP_1) | instid1(VALU_DEP_2)
	v_ashrrev_i32_e32 v13, 31, v12
	v_cmp_le_i32_e64 s4, s5, v12
	v_lshl_add_u64 v[12:13], v[12:13], 4, s[16:17]
	s_nor_b32 s12, s4, vcc_lo
	s_delay_alu instid0(SALU_CYCLE_1)
	s_and_saveexec_b32 s7, s12
	s_cbranch_execnz .LBB6_16
; %bb.13:                               ;   in Loop: Header=BB6_3 Depth=1
	s_or_b32 exec_lo, exec_lo, s7
	s_nor_b32 s12, s4, s1
	s_delay_alu instid0(SALU_CYCLE_1)
	s_and_saveexec_b32 s7, s12
	s_cbranch_execnz .LBB6_17
.LBB6_14:                               ;   in Loop: Header=BB6_3 Depth=1
	s_or_b32 exec_lo, exec_lo, s7
	s_nor_b32 s12, s4, s2
	s_delay_alu instid0(SALU_CYCLE_1)
	s_and_saveexec_b32 s7, s12
	s_cbranch_execnz .LBB6_18
.LBB6_15:                               ;   in Loop: Header=BB6_3 Depth=1
	s_or_b32 exec_lo, exec_lo, s7
	s_nor_b32 s7, s4, s3
	s_delay_alu instid0(SALU_CYCLE_1)
	s_and_saveexec_b32 s4, s7
	s_cbranch_execz .LBB6_2
	s_branch .LBB6_19
.LBB6_16:                               ;   in Loop: Header=BB6_3 Depth=1
	ds_load_b128 v[22:25], v17
	s_wait_dscnt 0x0
	v_mul_f64_e64 v[26:27], v[24:25], -s[10:11]
	v_mul_f64_e32 v[28:29], s[8:9], v[24:25]
	s_delay_alu instid0(VALU_DEP_2) | instskip(NEXT) | instid1(VALU_DEP_2)
	v_fmac_f64_e32 v[26:27], s[8:9], v[22:23]
	v_fmac_f64_e32 v[28:29], s[10:11], v[22:23]
	v_lshl_add_u64 v[22:23], v[4:5], 4, v[12:13]
	global_store_b128 v[22:23], v[26:29], off
	s_wait_xcnt 0x0
	s_or_b32 exec_lo, exec_lo, s7
	s_nor_b32 s12, s4, s1
	s_delay_alu instid0(SALU_CYCLE_1)
	s_and_saveexec_b32 s7, s12
	s_cbranch_execz .LBB6_14
.LBB6_17:                               ;   in Loop: Header=BB6_3 Depth=1
	ds_load_b128 v[22:25], v17 offset:128
	s_wait_dscnt 0x0
	v_mul_f64_e64 v[26:27], v[24:25], -s[10:11]
	v_mul_f64_e32 v[28:29], s[8:9], v[24:25]
	s_delay_alu instid0(VALU_DEP_2) | instskip(NEXT) | instid1(VALU_DEP_2)
	v_fmac_f64_e32 v[26:27], s[8:9], v[22:23]
	v_fmac_f64_e32 v[28:29], s[10:11], v[22:23]
	v_lshl_add_u64 v[22:23], v[6:7], 4, v[12:13]
	global_store_b128 v[22:23], v[26:29], off
	s_wait_xcnt 0x0
	s_or_b32 exec_lo, exec_lo, s7
	s_nor_b32 s12, s4, s2
	s_delay_alu instid0(SALU_CYCLE_1)
	s_and_saveexec_b32 s7, s12
	s_cbranch_execz .LBB6_15
.LBB6_18:                               ;   in Loop: Header=BB6_3 Depth=1
	ds_load_b128 v[22:25], v17 offset:256
	s_wait_dscnt 0x0
	v_mul_f64_e64 v[26:27], v[24:25], -s[10:11]
	v_mul_f64_e32 v[28:29], s[8:9], v[24:25]
	s_delay_alu instid0(VALU_DEP_2) | instskip(NEXT) | instid1(VALU_DEP_2)
	v_fmac_f64_e32 v[26:27], s[8:9], v[22:23]
	v_fmac_f64_e32 v[28:29], s[10:11], v[22:23]
	v_lshl_add_u64 v[22:23], v[8:9], 4, v[12:13]
	global_store_b128 v[22:23], v[26:29], off
	s_wait_xcnt 0x0
	s_or_b32 exec_lo, exec_lo, s7
	s_nor_b32 s7, s4, s3
	s_delay_alu instid0(SALU_CYCLE_1)
	s_and_saveexec_b32 s4, s7
	s_cbranch_execz .LBB6_2
.LBB6_19:                               ;   in Loop: Header=BB6_3 Depth=1
	ds_load_b128 v[22:25], v17 offset:384
	v_lshl_add_u64 v[12:13], v[10:11], 4, v[12:13]
	s_wait_dscnt 0x0
	v_mul_f64_e64 v[26:27], v[24:25], -s[10:11]
	v_mul_f64_e32 v[28:29], s[8:9], v[24:25]
	s_delay_alu instid0(VALU_DEP_2) | instskip(NEXT) | instid1(VALU_DEP_2)
	v_fmac_f64_e32 v[26:27], s[8:9], v[22:23]
	v_fmac_f64_e32 v[28:29], s[10:11], v[22:23]
	global_store_b128 v[12:13], v[26:29], off
	s_branch .LBB6_2
.LBB6_20:
	s_endpgm
	.section	.rodata,"a",@progbits
	.p2align	6, 0x0
	.amdhsa_kernel _ZN9rocsparseL22dense_transpose_kernelILj32ELj8Ei21rocsparse_complex_numIdES2_EEvT1_S3_T3_PKT2_lPS5_l
		.amdhsa_group_segment_fixed_size 16384
		.amdhsa_private_segment_fixed_size 0
		.amdhsa_kernarg_size 56
		.amdhsa_user_sgpr_count 2
		.amdhsa_user_sgpr_dispatch_ptr 0
		.amdhsa_user_sgpr_queue_ptr 0
		.amdhsa_user_sgpr_kernarg_segment_ptr 1
		.amdhsa_user_sgpr_dispatch_id 0
		.amdhsa_user_sgpr_kernarg_preload_length 0
		.amdhsa_user_sgpr_kernarg_preload_offset 0
		.amdhsa_user_sgpr_private_segment_size 0
		.amdhsa_wavefront_size32 1
		.amdhsa_uses_dynamic_stack 0
		.amdhsa_enable_private_segment 0
		.amdhsa_system_sgpr_workgroup_id_x 1
		.amdhsa_system_sgpr_workgroup_id_y 0
		.amdhsa_system_sgpr_workgroup_id_z 0
		.amdhsa_system_sgpr_workgroup_info 0
		.amdhsa_system_vgpr_workitem_id 0
		.amdhsa_next_free_vgpr 30
		.amdhsa_next_free_sgpr 20
		.amdhsa_named_barrier_count 0
		.amdhsa_reserve_vcc 1
		.amdhsa_float_round_mode_32 0
		.amdhsa_float_round_mode_16_64 0
		.amdhsa_float_denorm_mode_32 3
		.amdhsa_float_denorm_mode_16_64 3
		.amdhsa_fp16_overflow 0
		.amdhsa_memory_ordered 1
		.amdhsa_forward_progress 1
		.amdhsa_inst_pref_size 9
		.amdhsa_round_robin_scheduling 0
		.amdhsa_exception_fp_ieee_invalid_op 0
		.amdhsa_exception_fp_denorm_src 0
		.amdhsa_exception_fp_ieee_div_zero 0
		.amdhsa_exception_fp_ieee_overflow 0
		.amdhsa_exception_fp_ieee_underflow 0
		.amdhsa_exception_fp_ieee_inexact 0
		.amdhsa_exception_int_div_zero 0
	.end_amdhsa_kernel
	.section	.text._ZN9rocsparseL22dense_transpose_kernelILj32ELj8Ei21rocsparse_complex_numIdES2_EEvT1_S3_T3_PKT2_lPS5_l,"axG",@progbits,_ZN9rocsparseL22dense_transpose_kernelILj32ELj8Ei21rocsparse_complex_numIdES2_EEvT1_S3_T3_PKT2_lPS5_l,comdat
.Lfunc_end6:
	.size	_ZN9rocsparseL22dense_transpose_kernelILj32ELj8Ei21rocsparse_complex_numIdES2_EEvT1_S3_T3_PKT2_lPS5_l, .Lfunc_end6-_ZN9rocsparseL22dense_transpose_kernelILj32ELj8Ei21rocsparse_complex_numIdES2_EEvT1_S3_T3_PKT2_lPS5_l
                                        ; -- End function
	.set _ZN9rocsparseL22dense_transpose_kernelILj32ELj8Ei21rocsparse_complex_numIdES2_EEvT1_S3_T3_PKT2_lPS5_l.num_vgpr, 30
	.set _ZN9rocsparseL22dense_transpose_kernelILj32ELj8Ei21rocsparse_complex_numIdES2_EEvT1_S3_T3_PKT2_lPS5_l.num_agpr, 0
	.set _ZN9rocsparseL22dense_transpose_kernelILj32ELj8Ei21rocsparse_complex_numIdES2_EEvT1_S3_T3_PKT2_lPS5_l.numbered_sgpr, 20
	.set _ZN9rocsparseL22dense_transpose_kernelILj32ELj8Ei21rocsparse_complex_numIdES2_EEvT1_S3_T3_PKT2_lPS5_l.num_named_barrier, 0
	.set _ZN9rocsparseL22dense_transpose_kernelILj32ELj8Ei21rocsparse_complex_numIdES2_EEvT1_S3_T3_PKT2_lPS5_l.private_seg_size, 0
	.set _ZN9rocsparseL22dense_transpose_kernelILj32ELj8Ei21rocsparse_complex_numIdES2_EEvT1_S3_T3_PKT2_lPS5_l.uses_vcc, 1
	.set _ZN9rocsparseL22dense_transpose_kernelILj32ELj8Ei21rocsparse_complex_numIdES2_EEvT1_S3_T3_PKT2_lPS5_l.uses_flat_scratch, 0
	.set _ZN9rocsparseL22dense_transpose_kernelILj32ELj8Ei21rocsparse_complex_numIdES2_EEvT1_S3_T3_PKT2_lPS5_l.has_dyn_sized_stack, 0
	.set _ZN9rocsparseL22dense_transpose_kernelILj32ELj8Ei21rocsparse_complex_numIdES2_EEvT1_S3_T3_PKT2_lPS5_l.has_recursion, 0
	.set _ZN9rocsparseL22dense_transpose_kernelILj32ELj8Ei21rocsparse_complex_numIdES2_EEvT1_S3_T3_PKT2_lPS5_l.has_indirect_call, 0
	.section	.AMDGPU.csdata,"",@progbits
; Kernel info:
; codeLenInByte = 1032
; TotalNumSgprs: 22
; NumVgprs: 30
; ScratchSize: 0
; MemoryBound: 0
; FloatMode: 240
; IeeeMode: 1
; LDSByteSize: 16384 bytes/workgroup (compile time only)
; SGPRBlocks: 0
; VGPRBlocks: 1
; NumSGPRsForWavesPerEU: 22
; NumVGPRsForWavesPerEU: 30
; NamedBarCnt: 0
; Occupancy: 16
; WaveLimiterHint : 0
; COMPUTE_PGM_RSRC2:SCRATCH_EN: 0
; COMPUTE_PGM_RSRC2:USER_SGPR: 2
; COMPUTE_PGM_RSRC2:TRAP_HANDLER: 0
; COMPUTE_PGM_RSRC2:TGID_X_EN: 1
; COMPUTE_PGM_RSRC2:TGID_Y_EN: 0
; COMPUTE_PGM_RSRC2:TGID_Z_EN: 0
; COMPUTE_PGM_RSRC2:TIDIG_COMP_CNT: 0
	.section	.text._ZN9rocsparseL22dense_transpose_kernelILj32ELj8Ei21rocsparse_complex_numIdEPKS2_EEvT1_S5_T3_PKT2_lPS7_l,"axG",@progbits,_ZN9rocsparseL22dense_transpose_kernelILj32ELj8Ei21rocsparse_complex_numIdEPKS2_EEvT1_S5_T3_PKT2_lPS7_l,comdat
	.globl	_ZN9rocsparseL22dense_transpose_kernelILj32ELj8Ei21rocsparse_complex_numIdEPKS2_EEvT1_S5_T3_PKT2_lPS7_l ; -- Begin function _ZN9rocsparseL22dense_transpose_kernelILj32ELj8Ei21rocsparse_complex_numIdEPKS2_EEvT1_S5_T3_PKT2_lPS7_l
	.p2align	8
	.type	_ZN9rocsparseL22dense_transpose_kernelILj32ELj8Ei21rocsparse_complex_numIdEPKS2_EEvT1_S5_T3_PKT2_lPS7_l,@function
_ZN9rocsparseL22dense_transpose_kernelILj32ELj8Ei21rocsparse_complex_numIdEPKS2_EEvT1_S5_T3_PKT2_lPS7_l: ; @_ZN9rocsparseL22dense_transpose_kernelILj32ELj8Ei21rocsparse_complex_numIdEPKS2_EEvT1_S5_T3_PKT2_lPS7_l
; %bb.0:
	s_load_b64 s[16:17], s[0:1], 0x0
	s_wait_kmcnt 0x0
	s_cmp_lt_i32 s17, 1
	s_cbranch_scc1 .LBB7_20
; %bb.1:
	s_load_b64 s[2:3], s[0:1], 0x28
	s_bfe_u32 s4, ttmp6, 0x4000c
	s_and_b32 s5, ttmp6, 15
	s_add_co_i32 s4, s4, 1
	s_getreg_b32 s6, hwreg(HW_REG_IB_STS2, 6, 4)
	s_mul_i32 s4, ttmp9, s4
	v_dual_mov_b32 v3, 0 :: v_dual_lshrrev_b32 v14, 5, v0
	s_add_co_i32 s5, s5, s4
	s_cmp_eq_u32 s6, 0
	s_delay_alu instid0(VALU_DEP_1)
	v_dual_lshlrev_b32 v17, 4, v14 :: v_dual_bitop2_b32 v15, 31, v0 bitop3:0x40
	s_cselect_b32 s4, ttmp9, s5
	v_mov_b32_e32 v13, v3
	s_lshl_b32 s12, s4, 5
	s_load_b256 s[4:11], s[0:1], 0x8
	v_dual_mov_b32 v23, v3 :: v_dual_bitop2_b32 v2, s12, v14 bitop3:0x54
	v_or_b32_e32 v0, s12, v15
	v_lshl_or_b32 v17, v15, 9, v17
	s_delay_alu instid0(VALU_DEP_3)
	v_cmp_le_u32_e32 vcc_lo, s16, v2
	v_or_b32_e32 v12, 8, v2
	v_or_b32_e32 v22, 16, v2
	s_wait_kmcnt 0x0
	v_mul_u64_e32 v[4:5], s[2:3], v[2:3]
	v_dual_ashrrev_i32 v1, 31, v0 :: v_dual_bitop2_b32 v2, 24, v2 bitop3:0x54
	v_mul_u64_e32 v[6:7], s[2:3], v[12:13]
	v_lshlrev_b32_e32 v13, 4, v15
	v_mul_u64_e32 v[8:9], s[2:3], v[22:23]
	s_delay_alu instid0(VALU_DEP_4)
	v_mul_u64_e32 v[10:11], s[2:3], v[2:3]
	v_cmp_gt_i32_e64 s0, s16, v0
	v_cmp_le_u32_e64 s1, s16, v12
	v_lshl_or_b32 v16, v14, 9, v13
	v_cmp_le_u32_e64 s2, s16, v22
	s_load_b128 s[12:15], s[4:5], 0x0
	v_lshl_add_u64 v[0:1], v[0:1], 4, s[6:7]
	v_cmp_le_u32_e64 s3, s16, v2
	v_or_b32_e32 v18, 0x1000, v16
	v_or_b32_e32 v19, 0x2000, v16
	;; [unrolled: 1-line block ×3, first 2 shown]
	s_wait_xcnt 0x0
	s_mov_b32 s5, 0
	s_branch .LBB7_3
.LBB7_2:                                ;   in Loop: Header=BB7_3 Depth=1
	s_wait_xcnt 0x0
	s_or_b32 exec_lo, exec_lo, s4
	s_add_co_i32 s5, s5, 32
	s_delay_alu instid0(SALU_CYCLE_1)
	s_cmp_lt_i32 s5, s17
	s_cbranch_scc0 .LBB7_20
.LBB7_3:                                ; =>This Inner Loop Header: Depth=1
	v_add_nc_u32_e32 v2, s5, v14
	s_barrier_signal -1
	s_barrier_wait -1
	s_delay_alu instid0(VALU_DEP_1) | instskip(SKIP_1) | instid1(SALU_CYCLE_1)
	v_cmp_gt_u32_e64 s4, s17, v2
	s_and_b32 s6, s0, s4
	s_and_saveexec_b32 s4, s6
	s_cbranch_execz .LBB7_5
; %bb.4:                                ;   in Loop: Header=BB7_3 Depth=1
	v_mul_u64_e32 v[12:13], s[8:9], v[2:3]
	s_delay_alu instid0(VALU_DEP_1)
	v_lshl_add_u64 v[12:13], v[12:13], 4, v[0:1]
	global_load_b128 v[22:25], v[12:13], off
	s_wait_loadcnt 0x0
	ds_store_2addr_b64 v16, v[22:23], v[24:25] offset1:1
.LBB7_5:                                ;   in Loop: Header=BB7_3 Depth=1
	s_wait_xcnt 0x0
	s_or_b32 exec_lo, exec_lo, s4
	s_and_saveexec_b32 s6, s0
	s_cbranch_execz .LBB7_12
; %bb.6:                                ;   in Loop: Header=BB7_3 Depth=1
	v_add_nc_u32_e32 v12, 8, v2
	s_mov_b32 s7, exec_lo
	s_delay_alu instid0(VALU_DEP_1)
	v_cmpx_gt_u32_e64 s17, v12
	s_cbranch_execz .LBB7_8
; %bb.7:                                ;   in Loop: Header=BB7_3 Depth=1
	v_mov_b32_e32 v13, v3
	s_delay_alu instid0(VALU_DEP_1) | instskip(NEXT) | instid1(VALU_DEP_1)
	v_mul_u64_e32 v[12:13], s[8:9], v[12:13]
	v_lshl_add_u64 v[12:13], v[12:13], 4, v[0:1]
	global_load_b128 v[22:25], v[12:13], off
	s_wait_loadcnt 0x0
	ds_store_2addr_b64 v18, v[22:23], v[24:25] offset1:1
.LBB7_8:                                ;   in Loop: Header=BB7_3 Depth=1
	s_wait_xcnt 0x0
	s_or_b32 exec_lo, exec_lo, s7
	v_add_nc_u32_e32 v12, 16, v2
	s_mov_b32 s7, exec_lo
	s_delay_alu instid0(VALU_DEP_1)
	v_cmpx_gt_u32_e64 s17, v12
	s_cbranch_execz .LBB7_10
; %bb.9:                                ;   in Loop: Header=BB7_3 Depth=1
	v_mov_b32_e32 v13, v3
	s_delay_alu instid0(VALU_DEP_1) | instskip(NEXT) | instid1(VALU_DEP_1)
	v_mul_u64_e32 v[12:13], s[8:9], v[12:13]
	v_lshl_add_u64 v[12:13], v[12:13], 4, v[0:1]
	global_load_b128 v[22:25], v[12:13], off
	s_wait_loadcnt 0x0
	ds_store_2addr_b64 v19, v[22:23], v[24:25] offset1:1
.LBB7_10:                               ;   in Loop: Header=BB7_3 Depth=1
	s_wait_xcnt 0x0
	s_or_b32 exec_lo, exec_lo, s7
	v_add_nc_u32_e32 v2, 24, v2
	s_delay_alu instid0(VALU_DEP_1)
	v_cmp_gt_u32_e64 s4, s17, v2
	s_and_b32 exec_lo, exec_lo, s4
	s_cbranch_execz .LBB7_12
; %bb.11:                               ;   in Loop: Header=BB7_3 Depth=1
	v_mul_u64_e32 v[12:13], s[8:9], v[2:3]
	s_delay_alu instid0(VALU_DEP_1)
	v_lshl_add_u64 v[12:13], v[12:13], 4, v[0:1]
	global_load_b128 v[22:25], v[12:13], off
	s_wait_loadcnt 0x0
	ds_store_2addr_b64 v20, v[22:23], v[24:25] offset1:1
.LBB7_12:                               ;   in Loop: Header=BB7_3 Depth=1
	s_wait_xcnt 0x0
	s_or_b32 exec_lo, exec_lo, s6
	v_add_nc_u32_e32 v12, s5, v15
	s_wait_dscnt 0x0
	s_barrier_signal -1
	s_barrier_wait -1
	s_delay_alu instid0(VALU_DEP_1) | instskip(SKIP_1) | instid1(VALU_DEP_2)
	v_ashrrev_i32_e32 v13, 31, v12
	v_cmp_le_i32_e64 s4, s17, v12
	v_lshl_add_u64 v[12:13], v[12:13], 4, s[10:11]
	s_nor_b32 s7, s4, vcc_lo
	s_delay_alu instid0(SALU_CYCLE_1)
	s_and_saveexec_b32 s6, s7
	s_cbranch_execnz .LBB7_16
; %bb.13:                               ;   in Loop: Header=BB7_3 Depth=1
	s_or_b32 exec_lo, exec_lo, s6
	s_nor_b32 s7, s4, s1
	s_delay_alu instid0(SALU_CYCLE_1)
	s_and_saveexec_b32 s6, s7
	s_cbranch_execnz .LBB7_17
.LBB7_14:                               ;   in Loop: Header=BB7_3 Depth=1
	s_or_b32 exec_lo, exec_lo, s6
	s_nor_b32 s7, s4, s2
	s_delay_alu instid0(SALU_CYCLE_1)
	s_and_saveexec_b32 s6, s7
	s_cbranch_execnz .LBB7_18
.LBB7_15:                               ;   in Loop: Header=BB7_3 Depth=1
	s_or_b32 exec_lo, exec_lo, s6
	s_nor_b32 s6, s4, s3
	s_delay_alu instid0(SALU_CYCLE_1)
	s_and_saveexec_b32 s4, s6
	s_cbranch_execz .LBB7_2
	s_branch .LBB7_19
.LBB7_16:                               ;   in Loop: Header=BB7_3 Depth=1
	ds_load_b128 v[22:25], v17
	s_wait_dscnt 0x0
	s_wait_kmcnt 0x0
	v_mul_f64_e64 v[26:27], v[24:25], -s[14:15]
	v_mul_f64_e32 v[28:29], s[12:13], v[24:25]
	s_delay_alu instid0(VALU_DEP_2) | instskip(NEXT) | instid1(VALU_DEP_2)
	v_fmac_f64_e32 v[26:27], s[12:13], v[22:23]
	v_fmac_f64_e32 v[28:29], s[14:15], v[22:23]
	v_lshl_add_u64 v[22:23], v[4:5], 4, v[12:13]
	global_store_b128 v[22:23], v[26:29], off
	s_wait_xcnt 0x0
	s_or_b32 exec_lo, exec_lo, s6
	s_nor_b32 s7, s4, s1
	s_delay_alu instid0(SALU_CYCLE_1)
	s_and_saveexec_b32 s6, s7
	s_cbranch_execz .LBB7_14
.LBB7_17:                               ;   in Loop: Header=BB7_3 Depth=1
	ds_load_b128 v[22:25], v17 offset:128
	s_wait_dscnt 0x0
	s_wait_kmcnt 0x0
	v_mul_f64_e64 v[26:27], v[24:25], -s[14:15]
	v_mul_f64_e32 v[28:29], s[12:13], v[24:25]
	s_delay_alu instid0(VALU_DEP_2) | instskip(NEXT) | instid1(VALU_DEP_2)
	v_fmac_f64_e32 v[26:27], s[12:13], v[22:23]
	v_fmac_f64_e32 v[28:29], s[14:15], v[22:23]
	v_lshl_add_u64 v[22:23], v[6:7], 4, v[12:13]
	global_store_b128 v[22:23], v[26:29], off
	s_wait_xcnt 0x0
	s_or_b32 exec_lo, exec_lo, s6
	s_nor_b32 s7, s4, s2
	s_delay_alu instid0(SALU_CYCLE_1)
	s_and_saveexec_b32 s6, s7
	s_cbranch_execz .LBB7_15
.LBB7_18:                               ;   in Loop: Header=BB7_3 Depth=1
	ds_load_b128 v[22:25], v17 offset:256
	s_wait_dscnt 0x0
	s_wait_kmcnt 0x0
	v_mul_f64_e64 v[26:27], v[24:25], -s[14:15]
	v_mul_f64_e32 v[28:29], s[12:13], v[24:25]
	s_delay_alu instid0(VALU_DEP_2) | instskip(NEXT) | instid1(VALU_DEP_2)
	v_fmac_f64_e32 v[26:27], s[12:13], v[22:23]
	v_fmac_f64_e32 v[28:29], s[14:15], v[22:23]
	v_lshl_add_u64 v[22:23], v[8:9], 4, v[12:13]
	global_store_b128 v[22:23], v[26:29], off
	s_wait_xcnt 0x0
	s_or_b32 exec_lo, exec_lo, s6
	s_nor_b32 s6, s4, s3
	s_delay_alu instid0(SALU_CYCLE_1)
	s_and_saveexec_b32 s4, s6
	s_cbranch_execz .LBB7_2
.LBB7_19:                               ;   in Loop: Header=BB7_3 Depth=1
	ds_load_b128 v[22:25], v17 offset:384
	v_lshl_add_u64 v[12:13], v[10:11], 4, v[12:13]
	s_wait_dscnt 0x0
	s_wait_kmcnt 0x0
	v_mul_f64_e64 v[26:27], v[24:25], -s[14:15]
	v_mul_f64_e32 v[28:29], s[12:13], v[24:25]
	s_delay_alu instid0(VALU_DEP_2) | instskip(NEXT) | instid1(VALU_DEP_2)
	v_fmac_f64_e32 v[26:27], s[12:13], v[22:23]
	v_fmac_f64_e32 v[28:29], s[14:15], v[22:23]
	global_store_b128 v[12:13], v[26:29], off
	s_branch .LBB7_2
.LBB7_20:
	s_endpgm
	.section	.rodata,"a",@progbits
	.p2align	6, 0x0
	.amdhsa_kernel _ZN9rocsparseL22dense_transpose_kernelILj32ELj8Ei21rocsparse_complex_numIdEPKS2_EEvT1_S5_T3_PKT2_lPS7_l
		.amdhsa_group_segment_fixed_size 16384
		.amdhsa_private_segment_fixed_size 0
		.amdhsa_kernarg_size 48
		.amdhsa_user_sgpr_count 2
		.amdhsa_user_sgpr_dispatch_ptr 0
		.amdhsa_user_sgpr_queue_ptr 0
		.amdhsa_user_sgpr_kernarg_segment_ptr 1
		.amdhsa_user_sgpr_dispatch_id 0
		.amdhsa_user_sgpr_kernarg_preload_length 0
		.amdhsa_user_sgpr_kernarg_preload_offset 0
		.amdhsa_user_sgpr_private_segment_size 0
		.amdhsa_wavefront_size32 1
		.amdhsa_uses_dynamic_stack 0
		.amdhsa_enable_private_segment 0
		.amdhsa_system_sgpr_workgroup_id_x 1
		.amdhsa_system_sgpr_workgroup_id_y 0
		.amdhsa_system_sgpr_workgroup_id_z 0
		.amdhsa_system_sgpr_workgroup_info 0
		.amdhsa_system_vgpr_workitem_id 0
		.amdhsa_next_free_vgpr 30
		.amdhsa_next_free_sgpr 18
		.amdhsa_named_barrier_count 0
		.amdhsa_reserve_vcc 1
		.amdhsa_float_round_mode_32 0
		.amdhsa_float_round_mode_16_64 0
		.amdhsa_float_denorm_mode_32 3
		.amdhsa_float_denorm_mode_16_64 3
		.amdhsa_fp16_overflow 0
		.amdhsa_memory_ordered 1
		.amdhsa_forward_progress 1
		.amdhsa_inst_pref_size 9
		.amdhsa_round_robin_scheduling 0
		.amdhsa_exception_fp_ieee_invalid_op 0
		.amdhsa_exception_fp_denorm_src 0
		.amdhsa_exception_fp_ieee_div_zero 0
		.amdhsa_exception_fp_ieee_overflow 0
		.amdhsa_exception_fp_ieee_underflow 0
		.amdhsa_exception_fp_ieee_inexact 0
		.amdhsa_exception_int_div_zero 0
	.end_amdhsa_kernel
	.section	.text._ZN9rocsparseL22dense_transpose_kernelILj32ELj8Ei21rocsparse_complex_numIdEPKS2_EEvT1_S5_T3_PKT2_lPS7_l,"axG",@progbits,_ZN9rocsparseL22dense_transpose_kernelILj32ELj8Ei21rocsparse_complex_numIdEPKS2_EEvT1_S5_T3_PKT2_lPS7_l,comdat
.Lfunc_end7:
	.size	_ZN9rocsparseL22dense_transpose_kernelILj32ELj8Ei21rocsparse_complex_numIdEPKS2_EEvT1_S5_T3_PKT2_lPS7_l, .Lfunc_end7-_ZN9rocsparseL22dense_transpose_kernelILj32ELj8Ei21rocsparse_complex_numIdEPKS2_EEvT1_S5_T3_PKT2_lPS7_l
                                        ; -- End function
	.set _ZN9rocsparseL22dense_transpose_kernelILj32ELj8Ei21rocsparse_complex_numIdEPKS2_EEvT1_S5_T3_PKT2_lPS7_l.num_vgpr, 30
	.set _ZN9rocsparseL22dense_transpose_kernelILj32ELj8Ei21rocsparse_complex_numIdEPKS2_EEvT1_S5_T3_PKT2_lPS7_l.num_agpr, 0
	.set _ZN9rocsparseL22dense_transpose_kernelILj32ELj8Ei21rocsparse_complex_numIdEPKS2_EEvT1_S5_T3_PKT2_lPS7_l.numbered_sgpr, 18
	.set _ZN9rocsparseL22dense_transpose_kernelILj32ELj8Ei21rocsparse_complex_numIdEPKS2_EEvT1_S5_T3_PKT2_lPS7_l.num_named_barrier, 0
	.set _ZN9rocsparseL22dense_transpose_kernelILj32ELj8Ei21rocsparse_complex_numIdEPKS2_EEvT1_S5_T3_PKT2_lPS7_l.private_seg_size, 0
	.set _ZN9rocsparseL22dense_transpose_kernelILj32ELj8Ei21rocsparse_complex_numIdEPKS2_EEvT1_S5_T3_PKT2_lPS7_l.uses_vcc, 1
	.set _ZN9rocsparseL22dense_transpose_kernelILj32ELj8Ei21rocsparse_complex_numIdEPKS2_EEvT1_S5_T3_PKT2_lPS7_l.uses_flat_scratch, 0
	.set _ZN9rocsparseL22dense_transpose_kernelILj32ELj8Ei21rocsparse_complex_numIdEPKS2_EEvT1_S5_T3_PKT2_lPS7_l.has_dyn_sized_stack, 0
	.set _ZN9rocsparseL22dense_transpose_kernelILj32ELj8Ei21rocsparse_complex_numIdEPKS2_EEvT1_S5_T3_PKT2_lPS7_l.has_recursion, 0
	.set _ZN9rocsparseL22dense_transpose_kernelILj32ELj8Ei21rocsparse_complex_numIdEPKS2_EEvT1_S5_T3_PKT2_lPS7_l.has_indirect_call, 0
	.section	.AMDGPU.csdata,"",@progbits
; Kernel info:
; codeLenInByte = 1056
; TotalNumSgprs: 20
; NumVgprs: 30
; ScratchSize: 0
; MemoryBound: 0
; FloatMode: 240
; IeeeMode: 1
; LDSByteSize: 16384 bytes/workgroup (compile time only)
; SGPRBlocks: 0
; VGPRBlocks: 1
; NumSGPRsForWavesPerEU: 20
; NumVGPRsForWavesPerEU: 30
; NamedBarCnt: 0
; Occupancy: 16
; WaveLimiterHint : 0
; COMPUTE_PGM_RSRC2:SCRATCH_EN: 0
; COMPUTE_PGM_RSRC2:USER_SGPR: 2
; COMPUTE_PGM_RSRC2:TRAP_HANDLER: 0
; COMPUTE_PGM_RSRC2:TGID_X_EN: 1
; COMPUTE_PGM_RSRC2:TGID_Y_EN: 0
; COMPUTE_PGM_RSRC2:TGID_Z_EN: 0
; COMPUTE_PGM_RSRC2:TIDIG_COMP_CNT: 0
	.section	.text._ZN9rocsparseL22dense_transpose_kernelILj32ELj8ElffEEvT1_S1_T3_PKT2_lPS3_l,"axG",@progbits,_ZN9rocsparseL22dense_transpose_kernelILj32ELj8ElffEEvT1_S1_T3_PKT2_lPS3_l,comdat
	.globl	_ZN9rocsparseL22dense_transpose_kernelILj32ELj8ElffEEvT1_S1_T3_PKT2_lPS3_l ; -- Begin function _ZN9rocsparseL22dense_transpose_kernelILj32ELj8ElffEEvT1_S1_T3_PKT2_lPS3_l
	.p2align	8
	.type	_ZN9rocsparseL22dense_transpose_kernelILj32ELj8ElffEEvT1_S1_T3_PKT2_lPS3_l,@function
_ZN9rocsparseL22dense_transpose_kernelILj32ELj8ElffEEvT1_S1_T3_PKT2_lPS3_l: ; @_ZN9rocsparseL22dense_transpose_kernelILj32ELj8ElffEEvT1_S1_T3_PKT2_lPS3_l
; %bb.0:
	s_load_b128 s[4:7], s[0:1], 0x0
	s_wait_kmcnt 0x0
	v_cmp_lt_i64_e64 s2, s[6:7], 1
	s_and_b32 vcc_lo, exec_lo, s2
	s_cbranch_vccnz .LBB8_20
; %bb.1:
	s_load_b256 s[8:15], s[0:1], 0x18
	s_bfe_u32 s2, ttmp6, 0x4000c
	s_and_b32 s3, ttmp6, 15
	s_add_co_i32 s2, s2, 1
	s_getreg_b32 s16, hwreg(HW_REG_IB_STS2, 6, 4)
	s_mul_i32 s2, ttmp9, s2
	v_dual_mov_b32 v5, 0 :: v_dual_lshrrev_b32 v2, 5, v0
	s_add_co_i32 s3, s3, s2
	s_cmp_eq_u32 s16, 0
	v_and_b32_e32 v0, 31, v0
	s_cselect_b32 s2, ttmp9, s3
	v_mov_b32_e32 v7, v5
	s_lshl_b32 s3, s2, 5
	s_delay_alu instid0(SALU_CYCLE_1) | instskip(SKIP_2) | instid1(VALU_DEP_3)
	v_dual_mov_b32 v3, v5 :: v_dual_bitop2_b32 v4, s3, v2 bitop3:0x54
	v_dual_mov_b32 v9, v5 :: v_dual_mov_b32 v11, v5
	v_dual_mov_b32 v31, v5 :: v_dual_bitop2_b32 v30, s3, v0 bitop3:0x54
	v_cmp_le_i64_e64 s2, s[4:5], v[4:5]
	v_or_b32_e32 v6, 8, v4
	v_or_b32_e32 v8, 16, v4
	;; [unrolled: 1-line block ×3, first 2 shown]
	s_wait_kmcnt 0x0
	v_mul_u64_e32 v[12:13], s[14:15], v[4:5]
	v_dual_lshlrev_b32 v27, 2, v2 :: v_dual_bitop2_b32 v4, 24, v2 bitop3:0x54
	v_mul_u64_e32 v[16:17], s[14:15], v[6:7]
	v_mul_u64_e32 v[22:23], s[10:11], v[2:3]
	;; [unrolled: 1-line block ×3, first 2 shown]
	s_delay_alu instid0(VALU_DEP_4)
	v_mul_u64_e32 v[14:15], s[10:11], v[4:5]
	v_dual_mov_b32 v1, v5 :: v_dual_bitop2_b32 v4, 16, v2 bitop3:0x54
	v_mul_u64_e32 v[28:29], s[14:15], v[10:11]
	s_load_b32 s14, s[0:1], 0x10
	s_wait_xcnt 0x0
	v_cmp_le_i64_e64 s1, s[4:5], v[6:7]
	v_mul_u64_e32 v[18:19], s[10:11], v[4:5]
	v_or_b32_e32 v4, 8, v2
	v_cmp_le_i64_e64 s3, s[4:5], v[8:9]
	v_lshl_or_b32 v27, v0, 7, v27
	s_delay_alu instid0(VALU_DEP_3) | instskip(SKIP_3) | instid1(VALU_DEP_3)
	v_mul_u64_e32 v[24:25], s[10:11], v[4:5]
	v_lshlrev_b32_e32 v4, 2, v0
	v_cmp_gt_i64_e64 s0, s[4:5], v[30:31]
	v_cmp_le_i64_e64 s4, s[4:5], v[10:11]
	v_lshl_or_b32 v26, v2, 7, v4
	v_lshl_add_u64 v[6:7], v[12:13], 2, s[12:13]
	v_lshl_add_u64 v[8:9], v[16:17], 2, s[12:13]
	v_lshlrev_b64_e32 v[12:13], 2, v[22:23]
	v_lshl_add_u64 v[10:11], v[20:21], 2, s[12:13]
	v_lshlrev_b64_e32 v[14:15], 2, v[14:15]
	v_lshl_add_u64 v[22:23], v[30:31], 2, s[8:9]
	s_lshl_b64 s[8:9], s[10:11], 7
	v_lshl_add_u64 v[20:21], v[28:29], 2, s[12:13]
	s_mov_b64 s[10:11], 0
	v_lshlrev_b64_e32 v[16:17], 2, v[18:19]
	v_lshlrev_b64_e32 v[18:19], 2, v[24:25]
	s_branch .LBB8_3
.LBB8_2:                                ;   in Loop: Header=BB8_3 Depth=1
	s_wait_xcnt 0x0
	s_or_b32 exec_lo, exec_lo, s5
	s_add_nc_u64 s[10:11], s[10:11], 32
	v_add_nc_u64_e32 v[6:7], 0x80, v[6:7]
	v_cmp_lt_i64_e64 s5, s[10:11], s[6:7]
	v_add_nc_u64_e32 v[8:9], 0x80, v[8:9]
	v_add_nc_u64_e32 v[10:11], 0x80, v[10:11]
	;; [unrolled: 1-line block ×4, first 2 shown]
	s_and_b32 vcc_lo, exec_lo, s5
	s_cbranch_vccz .LBB8_20
.LBB8_3:                                ; =>This Inner Loop Header: Depth=1
	v_add_nc_u64_e32 v[24:25], s[10:11], v[2:3]
	s_barrier_signal -1
	s_barrier_wait -1
	s_delay_alu instid0(VALU_DEP_1) | instskip(SKIP_1) | instid1(SALU_CYCLE_1)
	v_cmp_gt_i64_e32 vcc_lo, s[6:7], v[24:25]
	s_and_b32 s12, s0, vcc_lo
	s_and_saveexec_b32 s5, s12
	s_cbranch_execz .LBB8_5
; %bb.4:                                ;   in Loop: Header=BB8_3 Depth=1
	v_add_nc_u64_e32 v[28:29], v[22:23], v[12:13]
	global_load_b32 v28, v[28:29], off
	s_wait_loadcnt 0x0
	ds_store_b32 v26, v28
.LBB8_5:                                ;   in Loop: Header=BB8_3 Depth=1
	s_wait_xcnt 0x0
	s_or_b32 exec_lo, exec_lo, s5
	s_and_saveexec_b32 s5, s0
	s_cbranch_execz .LBB8_12
; %bb.6:                                ;   in Loop: Header=BB8_3 Depth=1
	v_add_nc_u64_e32 v[28:29], 8, v[24:25]
	s_mov_b32 s12, exec_lo
	s_delay_alu instid0(VALU_DEP_1)
	v_cmpx_gt_i64_e64 s[6:7], v[28:29]
	s_cbranch_execz .LBB8_8
; %bb.7:                                ;   in Loop: Header=BB8_3 Depth=1
	v_add_nc_u64_e32 v[28:29], v[22:23], v[18:19]
	global_load_b32 v28, v[28:29], off
	s_wait_loadcnt 0x0
	ds_store_b32 v26, v28 offset:1024
.LBB8_8:                                ;   in Loop: Header=BB8_3 Depth=1
	s_wait_xcnt 0x0
	s_or_b32 exec_lo, exec_lo, s12
	v_add_nc_u64_e32 v[28:29], 16, v[24:25]
	s_mov_b32 s12, exec_lo
	s_delay_alu instid0(VALU_DEP_1)
	v_cmpx_gt_i64_e64 s[6:7], v[28:29]
	s_cbranch_execz .LBB8_10
; %bb.9:                                ;   in Loop: Header=BB8_3 Depth=1
	v_add_nc_u64_e32 v[28:29], v[22:23], v[16:17]
	global_load_b32 v28, v[28:29], off
	s_wait_loadcnt 0x0
	ds_store_b32 v26, v28 offset:2048
.LBB8_10:                               ;   in Loop: Header=BB8_3 Depth=1
	s_wait_xcnt 0x0
	s_or_b32 exec_lo, exec_lo, s12
	v_add_nc_u64_e32 v[24:25], 24, v[24:25]
	s_delay_alu instid0(VALU_DEP_1)
	v_cmp_gt_i64_e32 vcc_lo, s[6:7], v[24:25]
	s_and_b32 exec_lo, exec_lo, vcc_lo
	s_cbranch_execz .LBB8_12
; %bb.11:                               ;   in Loop: Header=BB8_3 Depth=1
	v_add_nc_u64_e32 v[24:25], v[22:23], v[14:15]
	global_load_b32 v24, v[24:25], off
	s_wait_loadcnt 0x0
	ds_store_b32 v26, v24 offset:3072
.LBB8_12:                               ;   in Loop: Header=BB8_3 Depth=1
	s_wait_xcnt 0x0
	s_or_b32 exec_lo, exec_lo, s5
	v_add_nc_u64_e32 v[24:25], s[10:11], v[0:1]
	s_wait_dscnt 0x0
	s_barrier_signal -1
	s_barrier_wait -1
	s_delay_alu instid0(VALU_DEP_1) | instskip(SKIP_1) | instid1(SALU_CYCLE_1)
	v_cmp_le_i64_e32 vcc_lo, s[6:7], v[24:25]
	s_nor_b32 s12, vcc_lo, s2
	s_and_saveexec_b32 s5, s12
	s_cbranch_execnz .LBB8_16
; %bb.13:                               ;   in Loop: Header=BB8_3 Depth=1
	s_or_b32 exec_lo, exec_lo, s5
	s_nor_b32 s12, vcc_lo, s1
	s_delay_alu instid0(SALU_CYCLE_1)
	s_and_saveexec_b32 s5, s12
	s_cbranch_execnz .LBB8_17
.LBB8_14:                               ;   in Loop: Header=BB8_3 Depth=1
	s_or_b32 exec_lo, exec_lo, s5
	s_nor_b32 s12, vcc_lo, s3
	s_delay_alu instid0(SALU_CYCLE_1)
	s_and_saveexec_b32 s5, s12
	s_cbranch_execnz .LBB8_18
.LBB8_15:                               ;   in Loop: Header=BB8_3 Depth=1
	s_or_b32 exec_lo, exec_lo, s5
	s_nor_b32 s12, vcc_lo, s4
	s_delay_alu instid0(SALU_CYCLE_1)
	s_and_saveexec_b32 s5, s12
	s_cbranch_execz .LBB8_2
	s_branch .LBB8_19
.LBB8_16:                               ;   in Loop: Header=BB8_3 Depth=1
	ds_load_b32 v28, v27
	v_add_nc_u64_e32 v[24:25], v[6:7], v[4:5]
	s_wait_dscnt 0x0
	s_wait_kmcnt 0x0
	v_mul_f32_e32 v28, s14, v28
	global_store_b32 v[24:25], v28, off
	s_wait_xcnt 0x0
	s_or_b32 exec_lo, exec_lo, s5
	s_nor_b32 s12, vcc_lo, s1
	s_delay_alu instid0(SALU_CYCLE_1)
	s_and_saveexec_b32 s5, s12
	s_cbranch_execz .LBB8_14
.LBB8_17:                               ;   in Loop: Header=BB8_3 Depth=1
	ds_load_b32 v28, v27 offset:32
	v_add_nc_u64_e32 v[24:25], v[8:9], v[4:5]
	s_wait_dscnt 0x0
	s_wait_kmcnt 0x0
	v_mul_f32_e32 v28, s14, v28
	global_store_b32 v[24:25], v28, off
	s_wait_xcnt 0x0
	s_or_b32 exec_lo, exec_lo, s5
	s_nor_b32 s12, vcc_lo, s3
	s_delay_alu instid0(SALU_CYCLE_1)
	s_and_saveexec_b32 s5, s12
	s_cbranch_execz .LBB8_15
.LBB8_18:                               ;   in Loop: Header=BB8_3 Depth=1
	ds_load_b32 v28, v27 offset:64
	v_add_nc_u64_e32 v[24:25], v[10:11], v[4:5]
	s_wait_dscnt 0x0
	s_wait_kmcnt 0x0
	v_mul_f32_e32 v28, s14, v28
	global_store_b32 v[24:25], v28, off
	s_wait_xcnt 0x0
	s_or_b32 exec_lo, exec_lo, s5
	s_nor_b32 s12, vcc_lo, s4
	s_delay_alu instid0(SALU_CYCLE_1)
	s_and_saveexec_b32 s5, s12
	s_cbranch_execz .LBB8_2
.LBB8_19:                               ;   in Loop: Header=BB8_3 Depth=1
	ds_load_b32 v28, v27 offset:96
	v_add_nc_u64_e32 v[24:25], v[20:21], v[4:5]
	s_wait_dscnt 0x0
	s_wait_kmcnt 0x0
	v_mul_f32_e32 v28, s14, v28
	global_store_b32 v[24:25], v28, off
	s_branch .LBB8_2
.LBB8_20:
	s_endpgm
	.section	.rodata,"a",@progbits
	.p2align	6, 0x0
	.amdhsa_kernel _ZN9rocsparseL22dense_transpose_kernelILj32ELj8ElffEEvT1_S1_T3_PKT2_lPS3_l
		.amdhsa_group_segment_fixed_size 4096
		.amdhsa_private_segment_fixed_size 0
		.amdhsa_kernarg_size 56
		.amdhsa_user_sgpr_count 2
		.amdhsa_user_sgpr_dispatch_ptr 0
		.amdhsa_user_sgpr_queue_ptr 0
		.amdhsa_user_sgpr_kernarg_segment_ptr 1
		.amdhsa_user_sgpr_dispatch_id 0
		.amdhsa_user_sgpr_kernarg_preload_length 0
		.amdhsa_user_sgpr_kernarg_preload_offset 0
		.amdhsa_user_sgpr_private_segment_size 0
		.amdhsa_wavefront_size32 1
		.amdhsa_uses_dynamic_stack 0
		.amdhsa_enable_private_segment 0
		.amdhsa_system_sgpr_workgroup_id_x 1
		.amdhsa_system_sgpr_workgroup_id_y 0
		.amdhsa_system_sgpr_workgroup_id_z 0
		.amdhsa_system_sgpr_workgroup_info 0
		.amdhsa_system_vgpr_workitem_id 0
		.amdhsa_next_free_vgpr 32
		.amdhsa_next_free_sgpr 17
		.amdhsa_named_barrier_count 0
		.amdhsa_reserve_vcc 1
		.amdhsa_float_round_mode_32 0
		.amdhsa_float_round_mode_16_64 0
		.amdhsa_float_denorm_mode_32 3
		.amdhsa_float_denorm_mode_16_64 3
		.amdhsa_fp16_overflow 0
		.amdhsa_memory_ordered 1
		.amdhsa_forward_progress 1
		.amdhsa_inst_pref_size 8
		.amdhsa_round_robin_scheduling 0
		.amdhsa_exception_fp_ieee_invalid_op 0
		.amdhsa_exception_fp_denorm_src 0
		.amdhsa_exception_fp_ieee_div_zero 0
		.amdhsa_exception_fp_ieee_overflow 0
		.amdhsa_exception_fp_ieee_underflow 0
		.amdhsa_exception_fp_ieee_inexact 0
		.amdhsa_exception_int_div_zero 0
	.end_amdhsa_kernel
	.section	.text._ZN9rocsparseL22dense_transpose_kernelILj32ELj8ElffEEvT1_S1_T3_PKT2_lPS3_l,"axG",@progbits,_ZN9rocsparseL22dense_transpose_kernelILj32ELj8ElffEEvT1_S1_T3_PKT2_lPS3_l,comdat
.Lfunc_end8:
	.size	_ZN9rocsparseL22dense_transpose_kernelILj32ELj8ElffEEvT1_S1_T3_PKT2_lPS3_l, .Lfunc_end8-_ZN9rocsparseL22dense_transpose_kernelILj32ELj8ElffEEvT1_S1_T3_PKT2_lPS3_l
                                        ; -- End function
	.set _ZN9rocsparseL22dense_transpose_kernelILj32ELj8ElffEEvT1_S1_T3_PKT2_lPS3_l.num_vgpr, 32
	.set _ZN9rocsparseL22dense_transpose_kernelILj32ELj8ElffEEvT1_S1_T3_PKT2_lPS3_l.num_agpr, 0
	.set _ZN9rocsparseL22dense_transpose_kernelILj32ELj8ElffEEvT1_S1_T3_PKT2_lPS3_l.numbered_sgpr, 17
	.set _ZN9rocsparseL22dense_transpose_kernelILj32ELj8ElffEEvT1_S1_T3_PKT2_lPS3_l.num_named_barrier, 0
	.set _ZN9rocsparseL22dense_transpose_kernelILj32ELj8ElffEEvT1_S1_T3_PKT2_lPS3_l.private_seg_size, 0
	.set _ZN9rocsparseL22dense_transpose_kernelILj32ELj8ElffEEvT1_S1_T3_PKT2_lPS3_l.uses_vcc, 1
	.set _ZN9rocsparseL22dense_transpose_kernelILj32ELj8ElffEEvT1_S1_T3_PKT2_lPS3_l.uses_flat_scratch, 0
	.set _ZN9rocsparseL22dense_transpose_kernelILj32ELj8ElffEEvT1_S1_T3_PKT2_lPS3_l.has_dyn_sized_stack, 0
	.set _ZN9rocsparseL22dense_transpose_kernelILj32ELj8ElffEEvT1_S1_T3_PKT2_lPS3_l.has_recursion, 0
	.set _ZN9rocsparseL22dense_transpose_kernelILj32ELj8ElffEEvT1_S1_T3_PKT2_lPS3_l.has_indirect_call, 0
	.section	.AMDGPU.csdata,"",@progbits
; Kernel info:
; codeLenInByte = 996
; TotalNumSgprs: 19
; NumVgprs: 32
; ScratchSize: 0
; MemoryBound: 0
; FloatMode: 240
; IeeeMode: 1
; LDSByteSize: 4096 bytes/workgroup (compile time only)
; SGPRBlocks: 0
; VGPRBlocks: 1
; NumSGPRsForWavesPerEU: 19
; NumVGPRsForWavesPerEU: 32
; NamedBarCnt: 0
; Occupancy: 16
; WaveLimiterHint : 0
; COMPUTE_PGM_RSRC2:SCRATCH_EN: 0
; COMPUTE_PGM_RSRC2:USER_SGPR: 2
; COMPUTE_PGM_RSRC2:TRAP_HANDLER: 0
; COMPUTE_PGM_RSRC2:TGID_X_EN: 1
; COMPUTE_PGM_RSRC2:TGID_Y_EN: 0
; COMPUTE_PGM_RSRC2:TGID_Z_EN: 0
; COMPUTE_PGM_RSRC2:TIDIG_COMP_CNT: 0
	.section	.text._ZN9rocsparseL22dense_transpose_kernelILj32ELj8ElfPKfEEvT1_S3_T3_PKT2_lPS5_l,"axG",@progbits,_ZN9rocsparseL22dense_transpose_kernelILj32ELj8ElfPKfEEvT1_S3_T3_PKT2_lPS5_l,comdat
	.globl	_ZN9rocsparseL22dense_transpose_kernelILj32ELj8ElfPKfEEvT1_S3_T3_PKT2_lPS5_l ; -- Begin function _ZN9rocsparseL22dense_transpose_kernelILj32ELj8ElfPKfEEvT1_S3_T3_PKT2_lPS5_l
	.p2align	8
	.type	_ZN9rocsparseL22dense_transpose_kernelILj32ELj8ElfPKfEEvT1_S3_T3_PKT2_lPS5_l,@function
_ZN9rocsparseL22dense_transpose_kernelILj32ELj8ElfPKfEEvT1_S3_T3_PKT2_lPS5_l: ; @_ZN9rocsparseL22dense_transpose_kernelILj32ELj8ElfPKfEEvT1_S3_T3_PKT2_lPS5_l
; %bb.0:
	s_load_b256 s[4:11], s[0:1], 0x0
	s_wait_kmcnt 0x0
	v_cmp_lt_i64_e64 s2, s[6:7], 1
	s_and_b32 vcc_lo, exec_lo, s2
	s_cbranch_vccnz .LBB9_20
; %bb.1:
	s_load_b256 s[12:19], s[0:1], 0x20
	s_bfe_u32 s2, ttmp6, 0x4000c
	s_wait_xcnt 0x0
	s_and_b32 s0, ttmp6, 15
	s_add_co_i32 s2, s2, 1
	v_dual_mov_b32 v5, 0 :: v_dual_lshrrev_b32 v2, 5, v0
	s_mul_i32 s1, ttmp9, s2
	s_getreg_b32 s2, hwreg(HW_REG_IB_STS2, 6, 4)
	s_add_co_i32 s0, s0, s1
	s_cmp_eq_u32 s2, 0
	v_and_b32_e32 v0, 31, v0
	s_cselect_b32 s0, ttmp9, s0
	v_mov_b32_e32 v7, v5
	s_lshl_b32 s1, s0, 5
	s_delay_alu instid0(SALU_CYCLE_1) | instskip(SKIP_2) | instid1(VALU_DEP_3)
	v_dual_mov_b32 v3, v5 :: v_dual_bitop2_b32 v4, s1, v2 bitop3:0x54
	v_dual_mov_b32 v9, v5 :: v_dual_mov_b32 v11, v5
	v_dual_mov_b32 v31, v5 :: v_dual_bitop2_b32 v30, s1, v0 bitop3:0x54
	v_cmp_le_i64_e64 s0, s[4:5], v[4:5]
	v_or_b32_e32 v6, 8, v4
	v_or_b32_e32 v8, 16, v4
	;; [unrolled: 1-line block ×3, first 2 shown]
	s_wait_kmcnt 0x0
	v_mul_u64_e32 v[12:13], s[16:17], v[4:5]
	v_dual_lshlrev_b32 v27, 2, v2 :: v_dual_bitop2_b32 v4, 24, v2 bitop3:0x54
	v_mul_u64_e32 v[16:17], s[16:17], v[6:7]
	v_mul_u64_e32 v[22:23], s[12:13], v[2:3]
	;; [unrolled: 1-line block ×3, first 2 shown]
	s_delay_alu instid0(VALU_DEP_4) | instskip(SKIP_4) | instid1(VALU_DEP_3)
	v_mul_u64_e32 v[14:15], s[12:13], v[4:5]
	v_dual_mov_b32 v1, v5 :: v_dual_bitop2_b32 v4, 16, v2 bitop3:0x54
	v_mul_u64_e32 v[28:29], s[16:17], v[10:11]
	s_load_b32 s16, s[8:9], 0x0
	v_cmp_le_i64_e64 s2, s[4:5], v[6:7]
	v_mul_u64_e32 v[18:19], s[12:13], v[4:5]
	v_or_b32_e32 v4, 8, v2
	v_cmp_le_i64_e64 s3, s[4:5], v[8:9]
	v_lshl_or_b32 v27, v0, 7, v27
	s_wait_xcnt 0x0
	s_lshl_b64 s[8:9], s[12:13], 7
	v_mul_u64_e32 v[24:25], s[12:13], v[4:5]
	v_lshlrev_b32_e32 v4, 2, v0
	v_cmp_gt_i64_e64 s1, s[4:5], v[30:31]
	v_cmp_le_i64_e64 s4, s[4:5], v[10:11]
	s_delay_alu instid0(VALU_DEP_3)
	v_lshl_or_b32 v26, v2, 7, v4
	v_lshl_add_u64 v[6:7], v[12:13], 2, s[14:15]
	v_lshl_add_u64 v[8:9], v[16:17], 2, s[14:15]
	v_lshlrev_b64_e32 v[12:13], 2, v[22:23]
	v_lshl_add_u64 v[10:11], v[20:21], 2, s[14:15]
	v_lshlrev_b64_e32 v[14:15], 2, v[14:15]
	v_lshl_add_u64 v[22:23], v[30:31], 2, s[10:11]
	s_mov_b64 s[10:11], 0
	v_lshl_add_u64 v[20:21], v[28:29], 2, s[14:15]
	v_lshlrev_b64_e32 v[16:17], 2, v[18:19]
	v_lshlrev_b64_e32 v[18:19], 2, v[24:25]
	s_branch .LBB9_3
.LBB9_2:                                ;   in Loop: Header=BB9_3 Depth=1
	s_wait_xcnt 0x0
	s_or_b32 exec_lo, exec_lo, s5
	s_add_nc_u64 s[10:11], s[10:11], 32
	v_add_nc_u64_e32 v[6:7], 0x80, v[6:7]
	v_cmp_lt_i64_e64 s5, s[10:11], s[6:7]
	v_add_nc_u64_e32 v[8:9], 0x80, v[8:9]
	v_add_nc_u64_e32 v[10:11], 0x80, v[10:11]
	;; [unrolled: 1-line block ×4, first 2 shown]
	s_and_b32 vcc_lo, exec_lo, s5
	s_cbranch_vccz .LBB9_20
.LBB9_3:                                ; =>This Inner Loop Header: Depth=1
	v_add_nc_u64_e32 v[24:25], s[10:11], v[2:3]
	s_barrier_signal -1
	s_barrier_wait -1
	s_delay_alu instid0(VALU_DEP_1) | instskip(SKIP_1) | instid1(SALU_CYCLE_1)
	v_cmp_gt_i64_e32 vcc_lo, s[6:7], v[24:25]
	s_and_b32 s12, s1, vcc_lo
	s_and_saveexec_b32 s5, s12
	s_cbranch_execz .LBB9_5
; %bb.4:                                ;   in Loop: Header=BB9_3 Depth=1
	v_add_nc_u64_e32 v[28:29], v[22:23], v[12:13]
	global_load_b32 v28, v[28:29], off
	s_wait_loadcnt 0x0
	ds_store_b32 v26, v28
.LBB9_5:                                ;   in Loop: Header=BB9_3 Depth=1
	s_wait_xcnt 0x0
	s_or_b32 exec_lo, exec_lo, s5
	s_and_saveexec_b32 s5, s1
	s_cbranch_execz .LBB9_12
; %bb.6:                                ;   in Loop: Header=BB9_3 Depth=1
	v_add_nc_u64_e32 v[28:29], 8, v[24:25]
	s_mov_b32 s12, exec_lo
	s_delay_alu instid0(VALU_DEP_1)
	v_cmpx_gt_i64_e64 s[6:7], v[28:29]
	s_cbranch_execz .LBB9_8
; %bb.7:                                ;   in Loop: Header=BB9_3 Depth=1
	v_add_nc_u64_e32 v[28:29], v[22:23], v[18:19]
	global_load_b32 v28, v[28:29], off
	s_wait_loadcnt 0x0
	ds_store_b32 v26, v28 offset:1024
.LBB9_8:                                ;   in Loop: Header=BB9_3 Depth=1
	s_wait_xcnt 0x0
	s_or_b32 exec_lo, exec_lo, s12
	v_add_nc_u64_e32 v[28:29], 16, v[24:25]
	s_mov_b32 s12, exec_lo
	s_delay_alu instid0(VALU_DEP_1)
	v_cmpx_gt_i64_e64 s[6:7], v[28:29]
	s_cbranch_execz .LBB9_10
; %bb.9:                                ;   in Loop: Header=BB9_3 Depth=1
	v_add_nc_u64_e32 v[28:29], v[22:23], v[16:17]
	global_load_b32 v28, v[28:29], off
	s_wait_loadcnt 0x0
	ds_store_b32 v26, v28 offset:2048
.LBB9_10:                               ;   in Loop: Header=BB9_3 Depth=1
	s_wait_xcnt 0x0
	s_or_b32 exec_lo, exec_lo, s12
	v_add_nc_u64_e32 v[24:25], 24, v[24:25]
	s_delay_alu instid0(VALU_DEP_1)
	v_cmp_gt_i64_e32 vcc_lo, s[6:7], v[24:25]
	s_and_b32 exec_lo, exec_lo, vcc_lo
	s_cbranch_execz .LBB9_12
; %bb.11:                               ;   in Loop: Header=BB9_3 Depth=1
	v_add_nc_u64_e32 v[24:25], v[22:23], v[14:15]
	global_load_b32 v24, v[24:25], off
	s_wait_loadcnt 0x0
	ds_store_b32 v26, v24 offset:3072
.LBB9_12:                               ;   in Loop: Header=BB9_3 Depth=1
	s_wait_xcnt 0x0
	s_or_b32 exec_lo, exec_lo, s5
	v_add_nc_u64_e32 v[24:25], s[10:11], v[0:1]
	s_wait_dscnt 0x0
	s_barrier_signal -1
	s_barrier_wait -1
	s_delay_alu instid0(VALU_DEP_1) | instskip(SKIP_1) | instid1(SALU_CYCLE_1)
	v_cmp_le_i64_e32 vcc_lo, s[6:7], v[24:25]
	s_nor_b32 s12, vcc_lo, s0
	s_and_saveexec_b32 s5, s12
	s_cbranch_execnz .LBB9_16
; %bb.13:                               ;   in Loop: Header=BB9_3 Depth=1
	s_or_b32 exec_lo, exec_lo, s5
	s_nor_b32 s12, vcc_lo, s2
	s_delay_alu instid0(SALU_CYCLE_1)
	s_and_saveexec_b32 s5, s12
	s_cbranch_execnz .LBB9_17
.LBB9_14:                               ;   in Loop: Header=BB9_3 Depth=1
	s_or_b32 exec_lo, exec_lo, s5
	s_nor_b32 s12, vcc_lo, s3
	s_delay_alu instid0(SALU_CYCLE_1)
	s_and_saveexec_b32 s5, s12
	s_cbranch_execnz .LBB9_18
.LBB9_15:                               ;   in Loop: Header=BB9_3 Depth=1
	s_or_b32 exec_lo, exec_lo, s5
	s_nor_b32 s12, vcc_lo, s4
	s_delay_alu instid0(SALU_CYCLE_1)
	s_and_saveexec_b32 s5, s12
	s_cbranch_execz .LBB9_2
	s_branch .LBB9_19
.LBB9_16:                               ;   in Loop: Header=BB9_3 Depth=1
	ds_load_b32 v28, v27
	v_add_nc_u64_e32 v[24:25], v[6:7], v[4:5]
	s_wait_dscnt 0x0
	s_wait_kmcnt 0x0
	v_mul_f32_e32 v28, s16, v28
	global_store_b32 v[24:25], v28, off
	s_wait_xcnt 0x0
	s_or_b32 exec_lo, exec_lo, s5
	s_nor_b32 s12, vcc_lo, s2
	s_delay_alu instid0(SALU_CYCLE_1)
	s_and_saveexec_b32 s5, s12
	s_cbranch_execz .LBB9_14
.LBB9_17:                               ;   in Loop: Header=BB9_3 Depth=1
	ds_load_b32 v28, v27 offset:32
	v_add_nc_u64_e32 v[24:25], v[8:9], v[4:5]
	s_wait_dscnt 0x0
	s_wait_kmcnt 0x0
	v_mul_f32_e32 v28, s16, v28
	global_store_b32 v[24:25], v28, off
	s_wait_xcnt 0x0
	s_or_b32 exec_lo, exec_lo, s5
	s_nor_b32 s12, vcc_lo, s3
	s_delay_alu instid0(SALU_CYCLE_1)
	s_and_saveexec_b32 s5, s12
	s_cbranch_execz .LBB9_15
.LBB9_18:                               ;   in Loop: Header=BB9_3 Depth=1
	ds_load_b32 v28, v27 offset:64
	v_add_nc_u64_e32 v[24:25], v[10:11], v[4:5]
	s_wait_dscnt 0x0
	s_wait_kmcnt 0x0
	v_mul_f32_e32 v28, s16, v28
	global_store_b32 v[24:25], v28, off
	s_wait_xcnt 0x0
	s_or_b32 exec_lo, exec_lo, s5
	s_nor_b32 s12, vcc_lo, s4
	s_delay_alu instid0(SALU_CYCLE_1)
	s_and_saveexec_b32 s5, s12
	s_cbranch_execz .LBB9_2
.LBB9_19:                               ;   in Loop: Header=BB9_3 Depth=1
	ds_load_b32 v28, v27 offset:96
	v_add_nc_u64_e32 v[24:25], v[20:21], v[4:5]
	s_wait_dscnt 0x0
	s_wait_kmcnt 0x0
	v_mul_f32_e32 v28, s16, v28
	global_store_b32 v[24:25], v28, off
	s_branch .LBB9_2
.LBB9_20:
	s_endpgm
	.section	.rodata,"a",@progbits
	.p2align	6, 0x0
	.amdhsa_kernel _ZN9rocsparseL22dense_transpose_kernelILj32ELj8ElfPKfEEvT1_S3_T3_PKT2_lPS5_l
		.amdhsa_group_segment_fixed_size 4096
		.amdhsa_private_segment_fixed_size 0
		.amdhsa_kernarg_size 56
		.amdhsa_user_sgpr_count 2
		.amdhsa_user_sgpr_dispatch_ptr 0
		.amdhsa_user_sgpr_queue_ptr 0
		.amdhsa_user_sgpr_kernarg_segment_ptr 1
		.amdhsa_user_sgpr_dispatch_id 0
		.amdhsa_user_sgpr_kernarg_preload_length 0
		.amdhsa_user_sgpr_kernarg_preload_offset 0
		.amdhsa_user_sgpr_private_segment_size 0
		.amdhsa_wavefront_size32 1
		.amdhsa_uses_dynamic_stack 0
		.amdhsa_enable_private_segment 0
		.amdhsa_system_sgpr_workgroup_id_x 1
		.amdhsa_system_sgpr_workgroup_id_y 0
		.amdhsa_system_sgpr_workgroup_id_z 0
		.amdhsa_system_sgpr_workgroup_info 0
		.amdhsa_system_vgpr_workitem_id 0
		.amdhsa_next_free_vgpr 32
		.amdhsa_next_free_sgpr 20
		.amdhsa_named_barrier_count 0
		.amdhsa_reserve_vcc 1
		.amdhsa_float_round_mode_32 0
		.amdhsa_float_round_mode_16_64 0
		.amdhsa_float_denorm_mode_32 3
		.amdhsa_float_denorm_mode_16_64 3
		.amdhsa_fp16_overflow 0
		.amdhsa_memory_ordered 1
		.amdhsa_forward_progress 1
		.amdhsa_inst_pref_size 8
		.amdhsa_round_robin_scheduling 0
		.amdhsa_exception_fp_ieee_invalid_op 0
		.amdhsa_exception_fp_denorm_src 0
		.amdhsa_exception_fp_ieee_div_zero 0
		.amdhsa_exception_fp_ieee_overflow 0
		.amdhsa_exception_fp_ieee_underflow 0
		.amdhsa_exception_fp_ieee_inexact 0
		.amdhsa_exception_int_div_zero 0
	.end_amdhsa_kernel
	.section	.text._ZN9rocsparseL22dense_transpose_kernelILj32ELj8ElfPKfEEvT1_S3_T3_PKT2_lPS5_l,"axG",@progbits,_ZN9rocsparseL22dense_transpose_kernelILj32ELj8ElfPKfEEvT1_S3_T3_PKT2_lPS5_l,comdat
.Lfunc_end9:
	.size	_ZN9rocsparseL22dense_transpose_kernelILj32ELj8ElfPKfEEvT1_S3_T3_PKT2_lPS5_l, .Lfunc_end9-_ZN9rocsparseL22dense_transpose_kernelILj32ELj8ElfPKfEEvT1_S3_T3_PKT2_lPS5_l
                                        ; -- End function
	.set _ZN9rocsparseL22dense_transpose_kernelILj32ELj8ElfPKfEEvT1_S3_T3_PKT2_lPS5_l.num_vgpr, 32
	.set _ZN9rocsparseL22dense_transpose_kernelILj32ELj8ElfPKfEEvT1_S3_T3_PKT2_lPS5_l.num_agpr, 0
	.set _ZN9rocsparseL22dense_transpose_kernelILj32ELj8ElfPKfEEvT1_S3_T3_PKT2_lPS5_l.numbered_sgpr, 20
	.set _ZN9rocsparseL22dense_transpose_kernelILj32ELj8ElfPKfEEvT1_S3_T3_PKT2_lPS5_l.num_named_barrier, 0
	.set _ZN9rocsparseL22dense_transpose_kernelILj32ELj8ElfPKfEEvT1_S3_T3_PKT2_lPS5_l.private_seg_size, 0
	.set _ZN9rocsparseL22dense_transpose_kernelILj32ELj8ElfPKfEEvT1_S3_T3_PKT2_lPS5_l.uses_vcc, 1
	.set _ZN9rocsparseL22dense_transpose_kernelILj32ELj8ElfPKfEEvT1_S3_T3_PKT2_lPS5_l.uses_flat_scratch, 0
	.set _ZN9rocsparseL22dense_transpose_kernelILj32ELj8ElfPKfEEvT1_S3_T3_PKT2_lPS5_l.has_dyn_sized_stack, 0
	.set _ZN9rocsparseL22dense_transpose_kernelILj32ELj8ElfPKfEEvT1_S3_T3_PKT2_lPS5_l.has_recursion, 0
	.set _ZN9rocsparseL22dense_transpose_kernelILj32ELj8ElfPKfEEvT1_S3_T3_PKT2_lPS5_l.has_indirect_call, 0
	.section	.AMDGPU.csdata,"",@progbits
; Kernel info:
; codeLenInByte = 1000
; TotalNumSgprs: 22
; NumVgprs: 32
; ScratchSize: 0
; MemoryBound: 0
; FloatMode: 240
; IeeeMode: 1
; LDSByteSize: 4096 bytes/workgroup (compile time only)
; SGPRBlocks: 0
; VGPRBlocks: 1
; NumSGPRsForWavesPerEU: 22
; NumVGPRsForWavesPerEU: 32
; NamedBarCnt: 0
; Occupancy: 16
; WaveLimiterHint : 0
; COMPUTE_PGM_RSRC2:SCRATCH_EN: 0
; COMPUTE_PGM_RSRC2:USER_SGPR: 2
; COMPUTE_PGM_RSRC2:TRAP_HANDLER: 0
; COMPUTE_PGM_RSRC2:TGID_X_EN: 1
; COMPUTE_PGM_RSRC2:TGID_Y_EN: 0
; COMPUTE_PGM_RSRC2:TGID_Z_EN: 0
; COMPUTE_PGM_RSRC2:TIDIG_COMP_CNT: 0
	.section	.text._ZN9rocsparseL22dense_transpose_kernelILj32ELj8ElddEEvT1_S1_T3_PKT2_lPS3_l,"axG",@progbits,_ZN9rocsparseL22dense_transpose_kernelILj32ELj8ElddEEvT1_S1_T3_PKT2_lPS3_l,comdat
	.globl	_ZN9rocsparseL22dense_transpose_kernelILj32ELj8ElddEEvT1_S1_T3_PKT2_lPS3_l ; -- Begin function _ZN9rocsparseL22dense_transpose_kernelILj32ELj8ElddEEvT1_S1_T3_PKT2_lPS3_l
	.p2align	8
	.type	_ZN9rocsparseL22dense_transpose_kernelILj32ELj8ElddEEvT1_S1_T3_PKT2_lPS3_l,@function
_ZN9rocsparseL22dense_transpose_kernelILj32ELj8ElddEEvT1_S1_T3_PKT2_lPS3_l: ; @_ZN9rocsparseL22dense_transpose_kernelILj32ELj8ElddEEvT1_S1_T3_PKT2_lPS3_l
; %bb.0:
	s_load_b256 s[4:11], s[0:1], 0x0
	s_wait_kmcnt 0x0
	v_cmp_lt_i64_e64 s2, s[6:7], 1
	s_and_b32 vcc_lo, exec_lo, s2
	s_cbranch_vccnz .LBB10_20
; %bb.1:
	s_load_b256 s[12:19], s[0:1], 0x20
	s_bfe_u32 s2, ttmp6, 0x4000c
	s_wait_xcnt 0x0
	s_and_b32 s0, ttmp6, 15
	s_add_co_i32 s2, s2, 1
	v_dual_mov_b32 v5, 0 :: v_dual_lshrrev_b32 v2, 5, v0
	s_mul_i32 s1, ttmp9, s2
	s_getreg_b32 s2, hwreg(HW_REG_IB_STS2, 6, 4)
	s_add_co_i32 s0, s0, s1
	s_cmp_eq_u32 s2, 0
	v_and_b32_e32 v0, 31, v0
	s_cselect_b32 s0, ttmp9, s0
	v_mov_b32_e32 v7, v5
	s_lshl_b32 s1, s0, 5
	s_delay_alu instid0(SALU_CYCLE_1) | instskip(SKIP_2) | instid1(VALU_DEP_3)
	v_dual_mov_b32 v3, v5 :: v_dual_bitop2_b32 v4, s1, v2 bitop3:0x54
	v_dual_mov_b32 v9, v5 :: v_dual_mov_b32 v11, v5
	v_dual_mov_b32 v31, v5 :: v_dual_bitop2_b32 v30, s1, v0 bitop3:0x54
	v_cmp_le_i64_e64 s0, s[4:5], v[4:5]
	v_or_b32_e32 v6, 8, v4
	v_or_b32_e32 v8, 16, v4
	;; [unrolled: 1-line block ×3, first 2 shown]
	s_wait_kmcnt 0x0
	v_mul_u64_e32 v[12:13], s[16:17], v[4:5]
	v_dual_lshlrev_b32 v27, 3, v2 :: v_dual_bitop2_b32 v4, 24, v2 bitop3:0x54
	v_mul_u64_e32 v[16:17], s[16:17], v[6:7]
	v_mul_u64_e32 v[22:23], s[12:13], v[2:3]
	;; [unrolled: 1-line block ×3, first 2 shown]
	s_delay_alu instid0(VALU_DEP_4) | instskip(SKIP_4) | instid1(VALU_DEP_4)
	v_mul_u64_e32 v[14:15], s[12:13], v[4:5]
	v_dual_mov_b32 v1, v5 :: v_dual_bitop2_b32 v4, 16, v2 bitop3:0x54
	v_mul_u64_e32 v[28:29], s[16:17], v[10:11]
	v_cmp_le_i64_e64 s2, s[4:5], v[6:7]
	v_cmp_le_i64_e64 s3, s[4:5], v[8:9]
	v_mul_u64_e32 v[18:19], s[12:13], v[4:5]
	v_or_b32_e32 v4, 8, v2
	v_lshl_or_b32 v27, v0, 8, v27
	s_delay_alu instid0(VALU_DEP_2) | instskip(SKIP_3) | instid1(VALU_DEP_3)
	v_mul_u64_e32 v[24:25], s[12:13], v[4:5]
	v_lshlrev_b32_e32 v4, 3, v0
	v_cmp_gt_i64_e64 s1, s[4:5], v[30:31]
	v_cmp_le_i64_e64 s4, s[4:5], v[10:11]
	v_lshl_or_b32 v26, v2, 8, v4
	v_lshl_add_u64 v[6:7], v[12:13], 3, s[14:15]
	v_lshl_add_u64 v[8:9], v[16:17], 3, s[14:15]
	v_lshlrev_b64_e32 v[12:13], 3, v[22:23]
	v_lshl_add_u64 v[10:11], v[20:21], 3, s[14:15]
	v_lshlrev_b64_e32 v[14:15], 3, v[14:15]
	v_lshl_add_u64 v[22:23], v[30:31], 3, s[10:11]
	s_lshl_b64 s[10:11], s[12:13], 8
	v_lshl_add_u64 v[20:21], v[28:29], 3, s[14:15]
	s_mov_b64 s[12:13], 0
	v_lshlrev_b64_e32 v[16:17], 3, v[18:19]
	v_lshlrev_b64_e32 v[18:19], 3, v[24:25]
	s_branch .LBB10_3
.LBB10_2:                               ;   in Loop: Header=BB10_3 Depth=1
	s_wait_xcnt 0x0
	s_or_b32 exec_lo, exec_lo, s5
	s_add_nc_u64 s[12:13], s[12:13], 32
	v_add_nc_u64_e32 v[6:7], 0x100, v[6:7]
	v_cmp_lt_i64_e64 s5, s[12:13], s[6:7]
	v_add_nc_u64_e32 v[8:9], 0x100, v[8:9]
	v_add_nc_u64_e32 v[10:11], 0x100, v[10:11]
	;; [unrolled: 1-line block ×4, first 2 shown]
	s_and_b32 vcc_lo, exec_lo, s5
	s_cbranch_vccz .LBB10_20
.LBB10_3:                               ; =>This Inner Loop Header: Depth=1
	v_add_nc_u64_e32 v[24:25], s[12:13], v[2:3]
	s_barrier_signal -1
	s_barrier_wait -1
	s_delay_alu instid0(VALU_DEP_1) | instskip(SKIP_1) | instid1(SALU_CYCLE_1)
	v_cmp_gt_i64_e32 vcc_lo, s[6:7], v[24:25]
	s_and_b32 s14, s1, vcc_lo
	s_and_saveexec_b32 s5, s14
	s_cbranch_execz .LBB10_5
; %bb.4:                                ;   in Loop: Header=BB10_3 Depth=1
	v_add_nc_u64_e32 v[28:29], v[22:23], v[12:13]
	global_load_b64 v[28:29], v[28:29], off
	s_wait_loadcnt 0x0
	ds_store_b64 v26, v[28:29]
.LBB10_5:                               ;   in Loop: Header=BB10_3 Depth=1
	s_wait_xcnt 0x0
	s_or_b32 exec_lo, exec_lo, s5
	s_and_saveexec_b32 s5, s1
	s_cbranch_execz .LBB10_12
; %bb.6:                                ;   in Loop: Header=BB10_3 Depth=1
	v_add_nc_u64_e32 v[28:29], 8, v[24:25]
	s_mov_b32 s14, exec_lo
	s_delay_alu instid0(VALU_DEP_1)
	v_cmpx_gt_i64_e64 s[6:7], v[28:29]
	s_cbranch_execz .LBB10_8
; %bb.7:                                ;   in Loop: Header=BB10_3 Depth=1
	v_add_nc_u64_e32 v[28:29], v[22:23], v[18:19]
	global_load_b64 v[28:29], v[28:29], off
	s_wait_loadcnt 0x0
	ds_store_b64 v26, v[28:29] offset:2048
.LBB10_8:                               ;   in Loop: Header=BB10_3 Depth=1
	s_wait_xcnt 0x0
	s_or_b32 exec_lo, exec_lo, s14
	v_add_nc_u64_e32 v[28:29], 16, v[24:25]
	s_mov_b32 s14, exec_lo
	s_delay_alu instid0(VALU_DEP_1)
	v_cmpx_gt_i64_e64 s[6:7], v[28:29]
	s_cbranch_execz .LBB10_10
; %bb.9:                                ;   in Loop: Header=BB10_3 Depth=1
	v_add_nc_u64_e32 v[28:29], v[22:23], v[16:17]
	global_load_b64 v[28:29], v[28:29], off
	s_wait_loadcnt 0x0
	ds_store_b64 v26, v[28:29] offset:4096
.LBB10_10:                              ;   in Loop: Header=BB10_3 Depth=1
	s_wait_xcnt 0x0
	s_or_b32 exec_lo, exec_lo, s14
	v_add_nc_u64_e32 v[24:25], 24, v[24:25]
	s_delay_alu instid0(VALU_DEP_1)
	v_cmp_gt_i64_e32 vcc_lo, s[6:7], v[24:25]
	s_and_b32 exec_lo, exec_lo, vcc_lo
	s_cbranch_execz .LBB10_12
; %bb.11:                               ;   in Loop: Header=BB10_3 Depth=1
	v_add_nc_u64_e32 v[24:25], v[22:23], v[14:15]
	global_load_b64 v[24:25], v[24:25], off
	s_wait_loadcnt 0x0
	ds_store_b64 v26, v[24:25] offset:6144
.LBB10_12:                              ;   in Loop: Header=BB10_3 Depth=1
	s_wait_xcnt 0x0
	s_or_b32 exec_lo, exec_lo, s5
	v_add_nc_u64_e32 v[24:25], s[12:13], v[0:1]
	s_wait_dscnt 0x0
	s_barrier_signal -1
	s_barrier_wait -1
	s_delay_alu instid0(VALU_DEP_1) | instskip(SKIP_1) | instid1(SALU_CYCLE_1)
	v_cmp_le_i64_e32 vcc_lo, s[6:7], v[24:25]
	s_nor_b32 s14, vcc_lo, s0
	s_and_saveexec_b32 s5, s14
	s_cbranch_execnz .LBB10_16
; %bb.13:                               ;   in Loop: Header=BB10_3 Depth=1
	s_or_b32 exec_lo, exec_lo, s5
	s_nor_b32 s14, vcc_lo, s2
	s_delay_alu instid0(SALU_CYCLE_1)
	s_and_saveexec_b32 s5, s14
	s_cbranch_execnz .LBB10_17
.LBB10_14:                              ;   in Loop: Header=BB10_3 Depth=1
	s_or_b32 exec_lo, exec_lo, s5
	s_nor_b32 s14, vcc_lo, s3
	s_delay_alu instid0(SALU_CYCLE_1)
	s_and_saveexec_b32 s5, s14
	s_cbranch_execnz .LBB10_18
.LBB10_15:                              ;   in Loop: Header=BB10_3 Depth=1
	s_or_b32 exec_lo, exec_lo, s5
	s_nor_b32 s14, vcc_lo, s4
	s_delay_alu instid0(SALU_CYCLE_1)
	s_and_saveexec_b32 s5, s14
	s_cbranch_execz .LBB10_2
	s_branch .LBB10_19
.LBB10_16:                              ;   in Loop: Header=BB10_3 Depth=1
	ds_load_b64 v[24:25], v27
	v_add_nc_u64_e32 v[28:29], v[6:7], v[4:5]
	s_wait_dscnt 0x0
	v_mul_f64_e32 v[24:25], s[8:9], v[24:25]
	global_store_b64 v[28:29], v[24:25], off
	s_wait_xcnt 0x0
	s_or_b32 exec_lo, exec_lo, s5
	s_nor_b32 s14, vcc_lo, s2
	s_delay_alu instid0(SALU_CYCLE_1)
	s_and_saveexec_b32 s5, s14
	s_cbranch_execz .LBB10_14
.LBB10_17:                              ;   in Loop: Header=BB10_3 Depth=1
	ds_load_b64 v[24:25], v27 offset:64
	v_add_nc_u64_e32 v[28:29], v[8:9], v[4:5]
	s_wait_dscnt 0x0
	v_mul_f64_e32 v[24:25], s[8:9], v[24:25]
	global_store_b64 v[28:29], v[24:25], off
	s_wait_xcnt 0x0
	s_or_b32 exec_lo, exec_lo, s5
	s_nor_b32 s14, vcc_lo, s3
	s_delay_alu instid0(SALU_CYCLE_1)
	s_and_saveexec_b32 s5, s14
	s_cbranch_execz .LBB10_15
.LBB10_18:                              ;   in Loop: Header=BB10_3 Depth=1
	ds_load_b64 v[24:25], v27 offset:128
	v_add_nc_u64_e32 v[28:29], v[10:11], v[4:5]
	s_wait_dscnt 0x0
	v_mul_f64_e32 v[24:25], s[8:9], v[24:25]
	global_store_b64 v[28:29], v[24:25], off
	s_wait_xcnt 0x0
	s_or_b32 exec_lo, exec_lo, s5
	s_nor_b32 s14, vcc_lo, s4
	s_delay_alu instid0(SALU_CYCLE_1)
	s_and_saveexec_b32 s5, s14
	s_cbranch_execz .LBB10_2
.LBB10_19:                              ;   in Loop: Header=BB10_3 Depth=1
	ds_load_b64 v[24:25], v27 offset:192
	v_add_nc_u64_e32 v[28:29], v[20:21], v[4:5]
	s_wait_dscnt 0x0
	v_mul_f64_e32 v[24:25], s[8:9], v[24:25]
	global_store_b64 v[28:29], v[24:25], off
	s_branch .LBB10_2
.LBB10_20:
	s_endpgm
	.section	.rodata,"a",@progbits
	.p2align	6, 0x0
	.amdhsa_kernel _ZN9rocsparseL22dense_transpose_kernelILj32ELj8ElddEEvT1_S1_T3_PKT2_lPS3_l
		.amdhsa_group_segment_fixed_size 8192
		.amdhsa_private_segment_fixed_size 0
		.amdhsa_kernarg_size 56
		.amdhsa_user_sgpr_count 2
		.amdhsa_user_sgpr_dispatch_ptr 0
		.amdhsa_user_sgpr_queue_ptr 0
		.amdhsa_user_sgpr_kernarg_segment_ptr 1
		.amdhsa_user_sgpr_dispatch_id 0
		.amdhsa_user_sgpr_kernarg_preload_length 0
		.amdhsa_user_sgpr_kernarg_preload_offset 0
		.amdhsa_user_sgpr_private_segment_size 0
		.amdhsa_wavefront_size32 1
		.amdhsa_uses_dynamic_stack 0
		.amdhsa_enable_private_segment 0
		.amdhsa_system_sgpr_workgroup_id_x 1
		.amdhsa_system_sgpr_workgroup_id_y 0
		.amdhsa_system_sgpr_workgroup_id_z 0
		.amdhsa_system_sgpr_workgroup_info 0
		.amdhsa_system_vgpr_workitem_id 0
		.amdhsa_next_free_vgpr 32
		.amdhsa_next_free_sgpr 20
		.amdhsa_named_barrier_count 0
		.amdhsa_reserve_vcc 1
		.amdhsa_float_round_mode_32 0
		.amdhsa_float_round_mode_16_64 0
		.amdhsa_float_denorm_mode_32 3
		.amdhsa_float_denorm_mode_16_64 3
		.amdhsa_fp16_overflow 0
		.amdhsa_memory_ordered 1
		.amdhsa_forward_progress 1
		.amdhsa_inst_pref_size 8
		.amdhsa_round_robin_scheduling 0
		.amdhsa_exception_fp_ieee_invalid_op 0
		.amdhsa_exception_fp_denorm_src 0
		.amdhsa_exception_fp_ieee_div_zero 0
		.amdhsa_exception_fp_ieee_overflow 0
		.amdhsa_exception_fp_ieee_underflow 0
		.amdhsa_exception_fp_ieee_inexact 0
		.amdhsa_exception_int_div_zero 0
	.end_amdhsa_kernel
	.section	.text._ZN9rocsparseL22dense_transpose_kernelILj32ELj8ElddEEvT1_S1_T3_PKT2_lPS3_l,"axG",@progbits,_ZN9rocsparseL22dense_transpose_kernelILj32ELj8ElddEEvT1_S1_T3_PKT2_lPS3_l,comdat
.Lfunc_end10:
	.size	_ZN9rocsparseL22dense_transpose_kernelILj32ELj8ElddEEvT1_S1_T3_PKT2_lPS3_l, .Lfunc_end10-_ZN9rocsparseL22dense_transpose_kernelILj32ELj8ElddEEvT1_S1_T3_PKT2_lPS3_l
                                        ; -- End function
	.set _ZN9rocsparseL22dense_transpose_kernelILj32ELj8ElddEEvT1_S1_T3_PKT2_lPS3_l.num_vgpr, 32
	.set _ZN9rocsparseL22dense_transpose_kernelILj32ELj8ElddEEvT1_S1_T3_PKT2_lPS3_l.num_agpr, 0
	.set _ZN9rocsparseL22dense_transpose_kernelILj32ELj8ElddEEvT1_S1_T3_PKT2_lPS3_l.numbered_sgpr, 20
	.set _ZN9rocsparseL22dense_transpose_kernelILj32ELj8ElddEEvT1_S1_T3_PKT2_lPS3_l.num_named_barrier, 0
	.set _ZN9rocsparseL22dense_transpose_kernelILj32ELj8ElddEEvT1_S1_T3_PKT2_lPS3_l.private_seg_size, 0
	.set _ZN9rocsparseL22dense_transpose_kernelILj32ELj8ElddEEvT1_S1_T3_PKT2_lPS3_l.uses_vcc, 1
	.set _ZN9rocsparseL22dense_transpose_kernelILj32ELj8ElddEEvT1_S1_T3_PKT2_lPS3_l.uses_flat_scratch, 0
	.set _ZN9rocsparseL22dense_transpose_kernelILj32ELj8ElddEEvT1_S1_T3_PKT2_lPS3_l.has_dyn_sized_stack, 0
	.set _ZN9rocsparseL22dense_transpose_kernelILj32ELj8ElddEEvT1_S1_T3_PKT2_lPS3_l.has_recursion, 0
	.set _ZN9rocsparseL22dense_transpose_kernelILj32ELj8ElddEEvT1_S1_T3_PKT2_lPS3_l.has_indirect_call, 0
	.section	.AMDGPU.csdata,"",@progbits
; Kernel info:
; codeLenInByte = 972
; TotalNumSgprs: 22
; NumVgprs: 32
; ScratchSize: 0
; MemoryBound: 0
; FloatMode: 240
; IeeeMode: 1
; LDSByteSize: 8192 bytes/workgroup (compile time only)
; SGPRBlocks: 0
; VGPRBlocks: 1
; NumSGPRsForWavesPerEU: 22
; NumVGPRsForWavesPerEU: 32
; NamedBarCnt: 0
; Occupancy: 16
; WaveLimiterHint : 0
; COMPUTE_PGM_RSRC2:SCRATCH_EN: 0
; COMPUTE_PGM_RSRC2:USER_SGPR: 2
; COMPUTE_PGM_RSRC2:TRAP_HANDLER: 0
; COMPUTE_PGM_RSRC2:TGID_X_EN: 1
; COMPUTE_PGM_RSRC2:TGID_Y_EN: 0
; COMPUTE_PGM_RSRC2:TGID_Z_EN: 0
; COMPUTE_PGM_RSRC2:TIDIG_COMP_CNT: 0
	.section	.text._ZN9rocsparseL22dense_transpose_kernelILj32ELj8EldPKdEEvT1_S3_T3_PKT2_lPS5_l,"axG",@progbits,_ZN9rocsparseL22dense_transpose_kernelILj32ELj8EldPKdEEvT1_S3_T3_PKT2_lPS5_l,comdat
	.globl	_ZN9rocsparseL22dense_transpose_kernelILj32ELj8EldPKdEEvT1_S3_T3_PKT2_lPS5_l ; -- Begin function _ZN9rocsparseL22dense_transpose_kernelILj32ELj8EldPKdEEvT1_S3_T3_PKT2_lPS5_l
	.p2align	8
	.type	_ZN9rocsparseL22dense_transpose_kernelILj32ELj8EldPKdEEvT1_S3_T3_PKT2_lPS5_l,@function
_ZN9rocsparseL22dense_transpose_kernelILj32ELj8EldPKdEEvT1_S3_T3_PKT2_lPS5_l: ; @_ZN9rocsparseL22dense_transpose_kernelILj32ELj8EldPKdEEvT1_S3_T3_PKT2_lPS5_l
; %bb.0:
	s_load_b256 s[4:11], s[0:1], 0x0
	s_wait_kmcnt 0x0
	v_cmp_lt_i64_e64 s2, s[6:7], 1
	s_and_b32 vcc_lo, exec_lo, s2
	s_cbranch_vccnz .LBB11_20
; %bb.1:
	s_load_b256 s[12:19], s[0:1], 0x20
	s_bfe_u32 s2, ttmp6, 0x4000c
	s_wait_xcnt 0x0
	s_and_b32 s0, ttmp6, 15
	s_add_co_i32 s2, s2, 1
	v_dual_mov_b32 v5, 0 :: v_dual_lshrrev_b32 v2, 5, v0
	s_mul_i32 s1, ttmp9, s2
	s_getreg_b32 s2, hwreg(HW_REG_IB_STS2, 6, 4)
	s_add_co_i32 s0, s0, s1
	s_cmp_eq_u32 s2, 0
	s_load_b64 s[8:9], s[8:9], 0x0
	s_cselect_b32 s0, ttmp9, s0
	v_and_b32_e32 v0, 31, v0
	s_lshl_b32 s1, s0, 5
	s_delay_alu instid0(SALU_CYCLE_1) | instskip(SKIP_1) | instid1(VALU_DEP_3)
	v_dual_mov_b32 v7, v5 :: v_dual_bitop2_b32 v4, s1, v2 bitop3:0x54
	v_dual_mov_b32 v3, v5 :: v_dual_mov_b32 v9, v5
	v_dual_mov_b32 v11, v5 :: v_dual_bitop2_b32 v30, s1, v0 bitop3:0x54
	s_delay_alu instid0(VALU_DEP_3)
	v_cmp_le_i64_e64 s0, s[4:5], v[4:5]
	v_or_b32_e32 v6, 8, v4
	v_or_b32_e32 v8, 16, v4
	v_or_b32_e32 v10, 24, v4
	s_wait_kmcnt 0x0
	v_mul_u64_e32 v[12:13], s[16:17], v[4:5]
	v_dual_mov_b32 v31, v5 :: v_dual_bitop2_b32 v4, 24, v2 bitop3:0x54
	v_lshlrev_b32_e32 v27, 3, v2
	v_mul_u64_e32 v[16:17], s[16:17], v[6:7]
	v_mul_u64_e32 v[22:23], s[12:13], v[2:3]
	s_delay_alu instid0(VALU_DEP_4) | instskip(SKIP_4) | instid1(VALU_DEP_4)
	v_mul_u64_e32 v[14:15], s[12:13], v[4:5]
	v_dual_mov_b32 v1, v5 :: v_dual_bitop2_b32 v4, 16, v2 bitop3:0x54
	v_mul_u64_e32 v[20:21], s[16:17], v[8:9]
	v_mul_u64_e32 v[28:29], s[16:17], v[10:11]
	v_cmp_le_i64_e64 s2, s[4:5], v[6:7]
	v_mul_u64_e32 v[18:19], s[12:13], v[4:5]
	v_or_b32_e32 v4, 8, v2
	v_cmp_le_i64_e64 s3, s[4:5], v[8:9]
	v_lshl_or_b32 v27, v0, 8, v27
	s_delay_alu instid0(VALU_DEP_3) | instskip(SKIP_3) | instid1(VALU_DEP_3)
	v_mul_u64_e32 v[24:25], s[12:13], v[4:5]
	v_lshlrev_b32_e32 v4, 3, v0
	v_cmp_gt_i64_e64 s1, s[4:5], v[30:31]
	v_cmp_le_i64_e64 s4, s[4:5], v[10:11]
	v_lshl_or_b32 v26, v2, 8, v4
	v_lshl_add_u64 v[6:7], v[12:13], 3, s[14:15]
	v_lshl_add_u64 v[8:9], v[16:17], 3, s[14:15]
	v_lshlrev_b64_e32 v[12:13], 3, v[22:23]
	v_lshlrev_b64_e32 v[14:15], 3, v[14:15]
	v_lshl_add_u64 v[22:23], v[30:31], 3, s[10:11]
	s_lshl_b64 s[10:11], s[12:13], 8
	v_lshl_add_u64 v[10:11], v[20:21], 3, s[14:15]
	v_lshl_add_u64 v[20:21], v[28:29], 3, s[14:15]
	s_mov_b64 s[12:13], 0
	v_lshlrev_b64_e32 v[16:17], 3, v[18:19]
	v_lshlrev_b64_e32 v[18:19], 3, v[24:25]
	s_branch .LBB11_3
.LBB11_2:                               ;   in Loop: Header=BB11_3 Depth=1
	s_wait_xcnt 0x0
	s_or_b32 exec_lo, exec_lo, s5
	s_add_nc_u64 s[12:13], s[12:13], 32
	v_add_nc_u64_e32 v[6:7], 0x100, v[6:7]
	v_cmp_lt_i64_e64 s5, s[12:13], s[6:7]
	v_add_nc_u64_e32 v[8:9], 0x100, v[8:9]
	v_add_nc_u64_e32 v[10:11], 0x100, v[10:11]
	;; [unrolled: 1-line block ×4, first 2 shown]
	s_and_b32 vcc_lo, exec_lo, s5
	s_cbranch_vccz .LBB11_20
.LBB11_3:                               ; =>This Inner Loop Header: Depth=1
	v_add_nc_u64_e32 v[24:25], s[12:13], v[2:3]
	s_barrier_signal -1
	s_barrier_wait -1
	s_delay_alu instid0(VALU_DEP_1) | instskip(SKIP_1) | instid1(SALU_CYCLE_1)
	v_cmp_gt_i64_e32 vcc_lo, s[6:7], v[24:25]
	s_and_b32 s14, s1, vcc_lo
	s_and_saveexec_b32 s5, s14
	s_cbranch_execz .LBB11_5
; %bb.4:                                ;   in Loop: Header=BB11_3 Depth=1
	v_add_nc_u64_e32 v[28:29], v[22:23], v[12:13]
	global_load_b64 v[28:29], v[28:29], off
	s_wait_loadcnt 0x0
	ds_store_b64 v26, v[28:29]
.LBB11_5:                               ;   in Loop: Header=BB11_3 Depth=1
	s_wait_xcnt 0x0
	s_or_b32 exec_lo, exec_lo, s5
	s_and_saveexec_b32 s5, s1
	s_cbranch_execz .LBB11_12
; %bb.6:                                ;   in Loop: Header=BB11_3 Depth=1
	v_add_nc_u64_e32 v[28:29], 8, v[24:25]
	s_mov_b32 s14, exec_lo
	s_delay_alu instid0(VALU_DEP_1)
	v_cmpx_gt_i64_e64 s[6:7], v[28:29]
	s_cbranch_execz .LBB11_8
; %bb.7:                                ;   in Loop: Header=BB11_3 Depth=1
	v_add_nc_u64_e32 v[28:29], v[22:23], v[18:19]
	global_load_b64 v[28:29], v[28:29], off
	s_wait_loadcnt 0x0
	ds_store_b64 v26, v[28:29] offset:2048
.LBB11_8:                               ;   in Loop: Header=BB11_3 Depth=1
	s_wait_xcnt 0x0
	s_or_b32 exec_lo, exec_lo, s14
	v_add_nc_u64_e32 v[28:29], 16, v[24:25]
	s_mov_b32 s14, exec_lo
	s_delay_alu instid0(VALU_DEP_1)
	v_cmpx_gt_i64_e64 s[6:7], v[28:29]
	s_cbranch_execz .LBB11_10
; %bb.9:                                ;   in Loop: Header=BB11_3 Depth=1
	v_add_nc_u64_e32 v[28:29], v[22:23], v[16:17]
	global_load_b64 v[28:29], v[28:29], off
	s_wait_loadcnt 0x0
	ds_store_b64 v26, v[28:29] offset:4096
.LBB11_10:                              ;   in Loop: Header=BB11_3 Depth=1
	s_wait_xcnt 0x0
	s_or_b32 exec_lo, exec_lo, s14
	v_add_nc_u64_e32 v[24:25], 24, v[24:25]
	s_delay_alu instid0(VALU_DEP_1)
	v_cmp_gt_i64_e32 vcc_lo, s[6:7], v[24:25]
	s_and_b32 exec_lo, exec_lo, vcc_lo
	s_cbranch_execz .LBB11_12
; %bb.11:                               ;   in Loop: Header=BB11_3 Depth=1
	v_add_nc_u64_e32 v[24:25], v[22:23], v[14:15]
	global_load_b64 v[24:25], v[24:25], off
	s_wait_loadcnt 0x0
	ds_store_b64 v26, v[24:25] offset:6144
.LBB11_12:                              ;   in Loop: Header=BB11_3 Depth=1
	s_wait_xcnt 0x0
	s_or_b32 exec_lo, exec_lo, s5
	v_add_nc_u64_e32 v[24:25], s[12:13], v[0:1]
	s_wait_dscnt 0x0
	s_barrier_signal -1
	s_barrier_wait -1
	s_delay_alu instid0(VALU_DEP_1) | instskip(SKIP_1) | instid1(SALU_CYCLE_1)
	v_cmp_le_i64_e32 vcc_lo, s[6:7], v[24:25]
	s_nor_b32 s14, vcc_lo, s0
	s_and_saveexec_b32 s5, s14
	s_cbranch_execnz .LBB11_16
; %bb.13:                               ;   in Loop: Header=BB11_3 Depth=1
	s_or_b32 exec_lo, exec_lo, s5
	s_nor_b32 s14, vcc_lo, s2
	s_delay_alu instid0(SALU_CYCLE_1)
	s_and_saveexec_b32 s5, s14
	s_cbranch_execnz .LBB11_17
.LBB11_14:                              ;   in Loop: Header=BB11_3 Depth=1
	s_or_b32 exec_lo, exec_lo, s5
	s_nor_b32 s14, vcc_lo, s3
	s_delay_alu instid0(SALU_CYCLE_1)
	s_and_saveexec_b32 s5, s14
	s_cbranch_execnz .LBB11_18
.LBB11_15:                              ;   in Loop: Header=BB11_3 Depth=1
	s_or_b32 exec_lo, exec_lo, s5
	s_nor_b32 s14, vcc_lo, s4
	s_delay_alu instid0(SALU_CYCLE_1)
	s_and_saveexec_b32 s5, s14
	s_cbranch_execz .LBB11_2
	s_branch .LBB11_19
.LBB11_16:                              ;   in Loop: Header=BB11_3 Depth=1
	ds_load_b64 v[24:25], v27
	v_add_nc_u64_e32 v[28:29], v[6:7], v[4:5]
	s_wait_dscnt 0x0
	v_mul_f64_e32 v[24:25], s[8:9], v[24:25]
	global_store_b64 v[28:29], v[24:25], off
	s_wait_xcnt 0x0
	s_or_b32 exec_lo, exec_lo, s5
	s_nor_b32 s14, vcc_lo, s2
	s_delay_alu instid0(SALU_CYCLE_1)
	s_and_saveexec_b32 s5, s14
	s_cbranch_execz .LBB11_14
.LBB11_17:                              ;   in Loop: Header=BB11_3 Depth=1
	ds_load_b64 v[24:25], v27 offset:64
	v_add_nc_u64_e32 v[28:29], v[8:9], v[4:5]
	s_wait_dscnt 0x0
	v_mul_f64_e32 v[24:25], s[8:9], v[24:25]
	global_store_b64 v[28:29], v[24:25], off
	s_wait_xcnt 0x0
	s_or_b32 exec_lo, exec_lo, s5
	s_nor_b32 s14, vcc_lo, s3
	s_delay_alu instid0(SALU_CYCLE_1)
	s_and_saveexec_b32 s5, s14
	s_cbranch_execz .LBB11_15
.LBB11_18:                              ;   in Loop: Header=BB11_3 Depth=1
	ds_load_b64 v[24:25], v27 offset:128
	v_add_nc_u64_e32 v[28:29], v[10:11], v[4:5]
	s_wait_dscnt 0x0
	v_mul_f64_e32 v[24:25], s[8:9], v[24:25]
	global_store_b64 v[28:29], v[24:25], off
	s_wait_xcnt 0x0
	s_or_b32 exec_lo, exec_lo, s5
	s_nor_b32 s14, vcc_lo, s4
	s_delay_alu instid0(SALU_CYCLE_1)
	s_and_saveexec_b32 s5, s14
	s_cbranch_execz .LBB11_2
.LBB11_19:                              ;   in Loop: Header=BB11_3 Depth=1
	ds_load_b64 v[24:25], v27 offset:192
	v_add_nc_u64_e32 v[28:29], v[20:21], v[4:5]
	s_wait_dscnt 0x0
	v_mul_f64_e32 v[24:25], s[8:9], v[24:25]
	global_store_b64 v[28:29], v[24:25], off
	s_branch .LBB11_2
.LBB11_20:
	s_endpgm
	.section	.rodata,"a",@progbits
	.p2align	6, 0x0
	.amdhsa_kernel _ZN9rocsparseL22dense_transpose_kernelILj32ELj8EldPKdEEvT1_S3_T3_PKT2_lPS5_l
		.amdhsa_group_segment_fixed_size 8192
		.amdhsa_private_segment_fixed_size 0
		.amdhsa_kernarg_size 56
		.amdhsa_user_sgpr_count 2
		.amdhsa_user_sgpr_dispatch_ptr 0
		.amdhsa_user_sgpr_queue_ptr 0
		.amdhsa_user_sgpr_kernarg_segment_ptr 1
		.amdhsa_user_sgpr_dispatch_id 0
		.amdhsa_user_sgpr_kernarg_preload_length 0
		.amdhsa_user_sgpr_kernarg_preload_offset 0
		.amdhsa_user_sgpr_private_segment_size 0
		.amdhsa_wavefront_size32 1
		.amdhsa_uses_dynamic_stack 0
		.amdhsa_enable_private_segment 0
		.amdhsa_system_sgpr_workgroup_id_x 1
		.amdhsa_system_sgpr_workgroup_id_y 0
		.amdhsa_system_sgpr_workgroup_id_z 0
		.amdhsa_system_sgpr_workgroup_info 0
		.amdhsa_system_vgpr_workitem_id 0
		.amdhsa_next_free_vgpr 32
		.amdhsa_next_free_sgpr 20
		.amdhsa_named_barrier_count 0
		.amdhsa_reserve_vcc 1
		.amdhsa_float_round_mode_32 0
		.amdhsa_float_round_mode_16_64 0
		.amdhsa_float_denorm_mode_32 3
		.amdhsa_float_denorm_mode_16_64 3
		.amdhsa_fp16_overflow 0
		.amdhsa_memory_ordered 1
		.amdhsa_forward_progress 1
		.amdhsa_inst_pref_size 8
		.amdhsa_round_robin_scheduling 0
		.amdhsa_exception_fp_ieee_invalid_op 0
		.amdhsa_exception_fp_denorm_src 0
		.amdhsa_exception_fp_ieee_div_zero 0
		.amdhsa_exception_fp_ieee_overflow 0
		.amdhsa_exception_fp_ieee_underflow 0
		.amdhsa_exception_fp_ieee_inexact 0
		.amdhsa_exception_int_div_zero 0
	.end_amdhsa_kernel
	.section	.text._ZN9rocsparseL22dense_transpose_kernelILj32ELj8EldPKdEEvT1_S3_T3_PKT2_lPS5_l,"axG",@progbits,_ZN9rocsparseL22dense_transpose_kernelILj32ELj8EldPKdEEvT1_S3_T3_PKT2_lPS5_l,comdat
.Lfunc_end11:
	.size	_ZN9rocsparseL22dense_transpose_kernelILj32ELj8EldPKdEEvT1_S3_T3_PKT2_lPS5_l, .Lfunc_end11-_ZN9rocsparseL22dense_transpose_kernelILj32ELj8EldPKdEEvT1_S3_T3_PKT2_lPS5_l
                                        ; -- End function
	.set _ZN9rocsparseL22dense_transpose_kernelILj32ELj8EldPKdEEvT1_S3_T3_PKT2_lPS5_l.num_vgpr, 32
	.set _ZN9rocsparseL22dense_transpose_kernelILj32ELj8EldPKdEEvT1_S3_T3_PKT2_lPS5_l.num_agpr, 0
	.set _ZN9rocsparseL22dense_transpose_kernelILj32ELj8EldPKdEEvT1_S3_T3_PKT2_lPS5_l.numbered_sgpr, 20
	.set _ZN9rocsparseL22dense_transpose_kernelILj32ELj8EldPKdEEvT1_S3_T3_PKT2_lPS5_l.num_named_barrier, 0
	.set _ZN9rocsparseL22dense_transpose_kernelILj32ELj8EldPKdEEvT1_S3_T3_PKT2_lPS5_l.private_seg_size, 0
	.set _ZN9rocsparseL22dense_transpose_kernelILj32ELj8EldPKdEEvT1_S3_T3_PKT2_lPS5_l.uses_vcc, 1
	.set _ZN9rocsparseL22dense_transpose_kernelILj32ELj8EldPKdEEvT1_S3_T3_PKT2_lPS5_l.uses_flat_scratch, 0
	.set _ZN9rocsparseL22dense_transpose_kernelILj32ELj8EldPKdEEvT1_S3_T3_PKT2_lPS5_l.has_dyn_sized_stack, 0
	.set _ZN9rocsparseL22dense_transpose_kernelILj32ELj8EldPKdEEvT1_S3_T3_PKT2_lPS5_l.has_recursion, 0
	.set _ZN9rocsparseL22dense_transpose_kernelILj32ELj8EldPKdEEvT1_S3_T3_PKT2_lPS5_l.has_indirect_call, 0
	.section	.AMDGPU.csdata,"",@progbits
; Kernel info:
; codeLenInByte = 984
; TotalNumSgprs: 22
; NumVgprs: 32
; ScratchSize: 0
; MemoryBound: 0
; FloatMode: 240
; IeeeMode: 1
; LDSByteSize: 8192 bytes/workgroup (compile time only)
; SGPRBlocks: 0
; VGPRBlocks: 1
; NumSGPRsForWavesPerEU: 22
; NumVGPRsForWavesPerEU: 32
; NamedBarCnt: 0
; Occupancy: 16
; WaveLimiterHint : 0
; COMPUTE_PGM_RSRC2:SCRATCH_EN: 0
; COMPUTE_PGM_RSRC2:USER_SGPR: 2
; COMPUTE_PGM_RSRC2:TRAP_HANDLER: 0
; COMPUTE_PGM_RSRC2:TGID_X_EN: 1
; COMPUTE_PGM_RSRC2:TGID_Y_EN: 0
; COMPUTE_PGM_RSRC2:TGID_Z_EN: 0
; COMPUTE_PGM_RSRC2:TIDIG_COMP_CNT: 0
	.section	.text._ZN9rocsparseL22dense_transpose_kernelILj32ELj8El21rocsparse_complex_numIfES2_EEvT1_S3_T3_PKT2_lPS5_l,"axG",@progbits,_ZN9rocsparseL22dense_transpose_kernelILj32ELj8El21rocsparse_complex_numIfES2_EEvT1_S3_T3_PKT2_lPS5_l,comdat
	.globl	_ZN9rocsparseL22dense_transpose_kernelILj32ELj8El21rocsparse_complex_numIfES2_EEvT1_S3_T3_PKT2_lPS5_l ; -- Begin function _ZN9rocsparseL22dense_transpose_kernelILj32ELj8El21rocsparse_complex_numIfES2_EEvT1_S3_T3_PKT2_lPS5_l
	.p2align	8
	.type	_ZN9rocsparseL22dense_transpose_kernelILj32ELj8El21rocsparse_complex_numIfES2_EEvT1_S3_T3_PKT2_lPS5_l,@function
_ZN9rocsparseL22dense_transpose_kernelILj32ELj8El21rocsparse_complex_numIfES2_EEvT1_S3_T3_PKT2_lPS5_l: ; @_ZN9rocsparseL22dense_transpose_kernelILj32ELj8El21rocsparse_complex_numIfES2_EEvT1_S3_T3_PKT2_lPS5_l
; %bb.0:
	s_load_b128 s[4:7], s[0:1], 0x0
	s_wait_kmcnt 0x0
	v_cmp_lt_i64_e64 s2, s[6:7], 1
	s_and_b32 vcc_lo, exec_lo, s2
	s_cbranch_vccnz .LBB12_20
; %bb.1:
	s_load_b256 s[8:15], s[0:1], 0x18
	s_bfe_u32 s2, ttmp6, 0x4000c
	s_and_b32 s3, ttmp6, 15
	s_add_co_i32 s2, s2, 1
	s_getreg_b32 s16, hwreg(HW_REG_IB_STS2, 6, 4)
	s_mul_i32 s2, ttmp9, s2
	v_dual_mov_b32 v5, 0 :: v_dual_lshrrev_b32 v2, 5, v0
	s_add_co_i32 s3, s3, s2
	s_cmp_eq_u32 s16, 0
	s_load_b64 s[16:17], s[0:1], 0x10
	s_cselect_b32 s2, ttmp9, s3
	v_and_b32_e32 v0, 31, v0
	s_lshl_b32 s3, s2, 5
	s_delay_alu instid0(SALU_CYCLE_1) | instskip(SKIP_1) | instid1(VALU_DEP_3)
	v_dual_mov_b32 v7, v5 :: v_dual_bitop2_b32 v4, s3, v2 bitop3:0x54
	v_dual_mov_b32 v3, v5 :: v_dual_mov_b32 v9, v5
	v_dual_mov_b32 v11, v5 :: v_dual_bitop2_b32 v30, s3, v0 bitop3:0x54
	s_delay_alu instid0(VALU_DEP_3)
	v_cmp_le_i64_e64 s2, s[4:5], v[4:5]
	v_or_b32_e32 v6, 8, v4
	v_or_b32_e32 v8, 16, v4
	;; [unrolled: 1-line block ×3, first 2 shown]
	s_wait_kmcnt 0x0
	v_mul_u64_e32 v[12:13], s[14:15], v[4:5]
	v_dual_mov_b32 v31, v5 :: v_dual_bitop2_b32 v4, 24, v2 bitop3:0x54
	v_lshlrev_b32_e32 v27, 3, v2
	v_mul_u64_e32 v[16:17], s[14:15], v[6:7]
	v_mul_u64_e32 v[22:23], s[10:11], v[2:3]
	s_delay_alu instid0(VALU_DEP_4) | instskip(SKIP_4) | instid1(VALU_DEP_4)
	v_mul_u64_e32 v[14:15], s[10:11], v[4:5]
	v_dual_mov_b32 v1, v5 :: v_dual_bitop2_b32 v4, 16, v2 bitop3:0x54
	v_mul_u64_e32 v[20:21], s[14:15], v[8:9]
	v_mul_u64_e32 v[28:29], s[14:15], v[10:11]
	v_cmp_le_i64_e64 s1, s[4:5], v[6:7]
	v_mul_u64_e32 v[18:19], s[10:11], v[4:5]
	v_or_b32_e32 v4, 8, v2
	v_cmp_le_i64_e64 s3, s[4:5], v[8:9]
	v_lshl_or_b32 v27, v0, 8, v27
	s_xor_b32 s14, s17, 0x80000000
	s_mov_b32 s15, s16
	v_mul_u64_e32 v[24:25], s[10:11], v[4:5]
	v_lshlrev_b32_e32 v4, 3, v0
	v_cmp_gt_i64_e64 s0, s[4:5], v[30:31]
	v_cmp_le_i64_e64 s4, s[4:5], v[10:11]
	s_delay_alu instid0(VALU_DEP_3)
	v_lshl_or_b32 v26, v2, 8, v4
	v_lshl_add_u64 v[6:7], v[12:13], 3, s[12:13]
	v_lshl_add_u64 v[8:9], v[16:17], 3, s[12:13]
	v_lshlrev_b64_e32 v[12:13], 3, v[22:23]
	v_lshlrev_b64_e32 v[14:15], 3, v[14:15]
	v_lshl_add_u64 v[22:23], v[30:31], 3, s[8:9]
	s_lshl_b64 s[8:9], s[10:11], 8
	v_lshl_add_u64 v[10:11], v[20:21], 3, s[12:13]
	v_lshl_add_u64 v[20:21], v[28:29], 3, s[12:13]
	s_mov_b64 s[10:11], 0
	v_lshlrev_b64_e32 v[16:17], 3, v[18:19]
	v_lshlrev_b64_e32 v[18:19], 3, v[24:25]
	s_branch .LBB12_3
.LBB12_2:                               ;   in Loop: Header=BB12_3 Depth=1
	s_wait_xcnt 0x0
	s_or_b32 exec_lo, exec_lo, s5
	s_add_nc_u64 s[10:11], s[10:11], 32
	v_add_nc_u64_e32 v[6:7], 0x100, v[6:7]
	v_cmp_lt_i64_e64 s5, s[10:11], s[6:7]
	v_add_nc_u64_e32 v[8:9], 0x100, v[8:9]
	v_add_nc_u64_e32 v[10:11], 0x100, v[10:11]
	;; [unrolled: 1-line block ×4, first 2 shown]
	s_and_b32 vcc_lo, exec_lo, s5
	s_cbranch_vccz .LBB12_20
.LBB12_3:                               ; =>This Inner Loop Header: Depth=1
	v_add_nc_u64_e32 v[24:25], s[10:11], v[2:3]
	s_barrier_signal -1
	s_barrier_wait -1
	s_delay_alu instid0(VALU_DEP_1) | instskip(SKIP_1) | instid1(SALU_CYCLE_1)
	v_cmp_gt_i64_e32 vcc_lo, s[6:7], v[24:25]
	s_and_b32 s12, s0, vcc_lo
	s_and_saveexec_b32 s5, s12
	s_cbranch_execz .LBB12_5
; %bb.4:                                ;   in Loop: Header=BB12_3 Depth=1
	v_add_nc_u64_e32 v[28:29], v[22:23], v[12:13]
	global_load_b64 v[28:29], v[28:29], off
	s_wait_loadcnt 0x0
	ds_store_b64 v26, v[28:29]
.LBB12_5:                               ;   in Loop: Header=BB12_3 Depth=1
	s_wait_xcnt 0x0
	s_or_b32 exec_lo, exec_lo, s5
	s_and_saveexec_b32 s5, s0
	s_cbranch_execz .LBB12_12
; %bb.6:                                ;   in Loop: Header=BB12_3 Depth=1
	v_add_nc_u64_e32 v[28:29], 8, v[24:25]
	s_mov_b32 s12, exec_lo
	s_delay_alu instid0(VALU_DEP_1)
	v_cmpx_gt_i64_e64 s[6:7], v[28:29]
	s_cbranch_execz .LBB12_8
; %bb.7:                                ;   in Loop: Header=BB12_3 Depth=1
	v_add_nc_u64_e32 v[28:29], v[22:23], v[18:19]
	global_load_b64 v[28:29], v[28:29], off
	s_wait_loadcnt 0x0
	ds_store_b64 v26, v[28:29] offset:2048
.LBB12_8:                               ;   in Loop: Header=BB12_3 Depth=1
	s_wait_xcnt 0x0
	s_or_b32 exec_lo, exec_lo, s12
	v_add_nc_u64_e32 v[28:29], 16, v[24:25]
	s_mov_b32 s12, exec_lo
	s_delay_alu instid0(VALU_DEP_1)
	v_cmpx_gt_i64_e64 s[6:7], v[28:29]
	s_cbranch_execz .LBB12_10
; %bb.9:                                ;   in Loop: Header=BB12_3 Depth=1
	v_add_nc_u64_e32 v[28:29], v[22:23], v[16:17]
	global_load_b64 v[28:29], v[28:29], off
	s_wait_loadcnt 0x0
	ds_store_b64 v26, v[28:29] offset:4096
.LBB12_10:                              ;   in Loop: Header=BB12_3 Depth=1
	s_wait_xcnt 0x0
	s_or_b32 exec_lo, exec_lo, s12
	v_add_nc_u64_e32 v[24:25], 24, v[24:25]
	s_delay_alu instid0(VALU_DEP_1)
	v_cmp_gt_i64_e32 vcc_lo, s[6:7], v[24:25]
	s_and_b32 exec_lo, exec_lo, vcc_lo
	s_cbranch_execz .LBB12_12
; %bb.11:                               ;   in Loop: Header=BB12_3 Depth=1
	v_add_nc_u64_e32 v[24:25], v[22:23], v[14:15]
	global_load_b64 v[24:25], v[24:25], off
	s_wait_loadcnt 0x0
	ds_store_b64 v26, v[24:25] offset:6144
.LBB12_12:                              ;   in Loop: Header=BB12_3 Depth=1
	s_wait_xcnt 0x0
	s_or_b32 exec_lo, exec_lo, s5
	v_add_nc_u64_e32 v[24:25], s[10:11], v[0:1]
	s_wait_dscnt 0x0
	s_barrier_signal -1
	s_barrier_wait -1
	s_delay_alu instid0(VALU_DEP_1) | instskip(SKIP_1) | instid1(SALU_CYCLE_1)
	v_cmp_le_i64_e32 vcc_lo, s[6:7], v[24:25]
	s_nor_b32 s12, vcc_lo, s2
	s_and_saveexec_b32 s5, s12
	s_cbranch_execnz .LBB12_16
; %bb.13:                               ;   in Loop: Header=BB12_3 Depth=1
	s_or_b32 exec_lo, exec_lo, s5
	s_nor_b32 s12, vcc_lo, s1
	s_delay_alu instid0(SALU_CYCLE_1)
	s_and_saveexec_b32 s5, s12
	s_cbranch_execnz .LBB12_17
.LBB12_14:                              ;   in Loop: Header=BB12_3 Depth=1
	s_or_b32 exec_lo, exec_lo, s5
	s_nor_b32 s12, vcc_lo, s3
	s_delay_alu instid0(SALU_CYCLE_1)
	s_and_saveexec_b32 s5, s12
	s_cbranch_execnz .LBB12_18
.LBB12_15:                              ;   in Loop: Header=BB12_3 Depth=1
	s_or_b32 exec_lo, exec_lo, s5
	s_nor_b32 s12, vcc_lo, s4
	s_delay_alu instid0(SALU_CYCLE_1)
	s_and_saveexec_b32 s5, s12
	s_cbranch_execz .LBB12_2
	s_branch .LBB12_19
.LBB12_16:                              ;   in Loop: Header=BB12_3 Depth=1
	ds_load_b64 v[24:25], v27
	v_mov_b64_e32 v[28:29], s[14:15]
	v_mov_b64_e32 v[30:31], s[16:17]
	v_add_nc_u64_e32 v[32:33], v[6:7], v[4:5]
	s_wait_dscnt 0x0
	s_delay_alu instid0(VALU_DEP_3) | instskip(NEXT) | instid1(VALU_DEP_1)
	v_pk_mul_f32 v[28:29], v[24:25], v[28:29] op_sel:[1,0]
	v_pk_fma_f32 v[24:25], v[30:31], v[24:25], v[28:29] op_sel_hi:[1,0,1]
	global_store_b64 v[32:33], v[24:25], off
	s_wait_xcnt 0x0
	s_or_b32 exec_lo, exec_lo, s5
	s_nor_b32 s12, vcc_lo, s1
	s_delay_alu instid0(SALU_CYCLE_1)
	s_and_saveexec_b32 s5, s12
	s_cbranch_execz .LBB12_14
.LBB12_17:                              ;   in Loop: Header=BB12_3 Depth=1
	ds_load_b64 v[24:25], v27 offset:64
	v_mov_b64_e32 v[28:29], s[14:15]
	v_mov_b64_e32 v[30:31], s[16:17]
	v_add_nc_u64_e32 v[32:33], v[8:9], v[4:5]
	s_wait_dscnt 0x0
	s_delay_alu instid0(VALU_DEP_3) | instskip(NEXT) | instid1(VALU_DEP_1)
	v_pk_mul_f32 v[28:29], v[24:25], v[28:29] op_sel:[1,0]
	v_pk_fma_f32 v[24:25], v[30:31], v[24:25], v[28:29] op_sel_hi:[1,0,1]
	global_store_b64 v[32:33], v[24:25], off
	s_wait_xcnt 0x0
	s_or_b32 exec_lo, exec_lo, s5
	s_nor_b32 s12, vcc_lo, s3
	s_delay_alu instid0(SALU_CYCLE_1)
	s_and_saveexec_b32 s5, s12
	s_cbranch_execz .LBB12_15
.LBB12_18:                              ;   in Loop: Header=BB12_3 Depth=1
	ds_load_b64 v[24:25], v27 offset:128
	v_mov_b64_e32 v[28:29], s[14:15]
	v_mov_b64_e32 v[30:31], s[16:17]
	v_add_nc_u64_e32 v[32:33], v[10:11], v[4:5]
	s_wait_dscnt 0x0
	s_delay_alu instid0(VALU_DEP_3) | instskip(NEXT) | instid1(VALU_DEP_1)
	v_pk_mul_f32 v[28:29], v[24:25], v[28:29] op_sel:[1,0]
	v_pk_fma_f32 v[24:25], v[30:31], v[24:25], v[28:29] op_sel_hi:[1,0,1]
	global_store_b64 v[32:33], v[24:25], off
	s_wait_xcnt 0x0
	s_or_b32 exec_lo, exec_lo, s5
	s_nor_b32 s12, vcc_lo, s4
	s_delay_alu instid0(SALU_CYCLE_1)
	s_and_saveexec_b32 s5, s12
	s_cbranch_execz .LBB12_2
.LBB12_19:                              ;   in Loop: Header=BB12_3 Depth=1
	ds_load_b64 v[24:25], v27 offset:192
	v_mov_b64_e32 v[28:29], s[14:15]
	v_mov_b64_e32 v[30:31], s[16:17]
	v_add_nc_u64_e32 v[32:33], v[20:21], v[4:5]
	s_wait_dscnt 0x0
	s_delay_alu instid0(VALU_DEP_3) | instskip(NEXT) | instid1(VALU_DEP_1)
	v_pk_mul_f32 v[28:29], v[24:25], v[28:29] op_sel:[1,0]
	v_pk_fma_f32 v[24:25], v[30:31], v[24:25], v[28:29] op_sel_hi:[1,0,1]
	global_store_b64 v[32:33], v[24:25], off
	s_branch .LBB12_2
.LBB12_20:
	s_endpgm
	.section	.rodata,"a",@progbits
	.p2align	6, 0x0
	.amdhsa_kernel _ZN9rocsparseL22dense_transpose_kernelILj32ELj8El21rocsparse_complex_numIfES2_EEvT1_S3_T3_PKT2_lPS5_l
		.amdhsa_group_segment_fixed_size 8192
		.amdhsa_private_segment_fixed_size 0
		.amdhsa_kernarg_size 56
		.amdhsa_user_sgpr_count 2
		.amdhsa_user_sgpr_dispatch_ptr 0
		.amdhsa_user_sgpr_queue_ptr 0
		.amdhsa_user_sgpr_kernarg_segment_ptr 1
		.amdhsa_user_sgpr_dispatch_id 0
		.amdhsa_user_sgpr_kernarg_preload_length 0
		.amdhsa_user_sgpr_kernarg_preload_offset 0
		.amdhsa_user_sgpr_private_segment_size 0
		.amdhsa_wavefront_size32 1
		.amdhsa_uses_dynamic_stack 0
		.amdhsa_enable_private_segment 0
		.amdhsa_system_sgpr_workgroup_id_x 1
		.amdhsa_system_sgpr_workgroup_id_y 0
		.amdhsa_system_sgpr_workgroup_id_z 0
		.amdhsa_system_sgpr_workgroup_info 0
		.amdhsa_system_vgpr_workitem_id 0
		.amdhsa_next_free_vgpr 34
		.amdhsa_next_free_sgpr 18
		.amdhsa_named_barrier_count 0
		.amdhsa_reserve_vcc 1
		.amdhsa_float_round_mode_32 0
		.amdhsa_float_round_mode_16_64 0
		.amdhsa_float_denorm_mode_32 3
		.amdhsa_float_denorm_mode_16_64 3
		.amdhsa_fp16_overflow 0
		.amdhsa_memory_ordered 1
		.amdhsa_forward_progress 1
		.amdhsa_inst_pref_size 9
		.amdhsa_round_robin_scheduling 0
		.amdhsa_exception_fp_ieee_invalid_op 0
		.amdhsa_exception_fp_denorm_src 0
		.amdhsa_exception_fp_ieee_div_zero 0
		.amdhsa_exception_fp_ieee_overflow 0
		.amdhsa_exception_fp_ieee_underflow 0
		.amdhsa_exception_fp_ieee_inexact 0
		.amdhsa_exception_int_div_zero 0
	.end_amdhsa_kernel
	.section	.text._ZN9rocsparseL22dense_transpose_kernelILj32ELj8El21rocsparse_complex_numIfES2_EEvT1_S3_T3_PKT2_lPS5_l,"axG",@progbits,_ZN9rocsparseL22dense_transpose_kernelILj32ELj8El21rocsparse_complex_numIfES2_EEvT1_S3_T3_PKT2_lPS5_l,comdat
.Lfunc_end12:
	.size	_ZN9rocsparseL22dense_transpose_kernelILj32ELj8El21rocsparse_complex_numIfES2_EEvT1_S3_T3_PKT2_lPS5_l, .Lfunc_end12-_ZN9rocsparseL22dense_transpose_kernelILj32ELj8El21rocsparse_complex_numIfES2_EEvT1_S3_T3_PKT2_lPS5_l
                                        ; -- End function
	.set _ZN9rocsparseL22dense_transpose_kernelILj32ELj8El21rocsparse_complex_numIfES2_EEvT1_S3_T3_PKT2_lPS5_l.num_vgpr, 34
	.set _ZN9rocsparseL22dense_transpose_kernelILj32ELj8El21rocsparse_complex_numIfES2_EEvT1_S3_T3_PKT2_lPS5_l.num_agpr, 0
	.set _ZN9rocsparseL22dense_transpose_kernelILj32ELj8El21rocsparse_complex_numIfES2_EEvT1_S3_T3_PKT2_lPS5_l.numbered_sgpr, 18
	.set _ZN9rocsparseL22dense_transpose_kernelILj32ELj8El21rocsparse_complex_numIfES2_EEvT1_S3_T3_PKT2_lPS5_l.num_named_barrier, 0
	.set _ZN9rocsparseL22dense_transpose_kernelILj32ELj8El21rocsparse_complex_numIfES2_EEvT1_S3_T3_PKT2_lPS5_l.private_seg_size, 0
	.set _ZN9rocsparseL22dense_transpose_kernelILj32ELj8El21rocsparse_complex_numIfES2_EEvT1_S3_T3_PKT2_lPS5_l.uses_vcc, 1
	.set _ZN9rocsparseL22dense_transpose_kernelILj32ELj8El21rocsparse_complex_numIfES2_EEvT1_S3_T3_PKT2_lPS5_l.uses_flat_scratch, 0
	.set _ZN9rocsparseL22dense_transpose_kernelILj32ELj8El21rocsparse_complex_numIfES2_EEvT1_S3_T3_PKT2_lPS5_l.has_dyn_sized_stack, 0
	.set _ZN9rocsparseL22dense_transpose_kernelILj32ELj8El21rocsparse_complex_numIfES2_EEvT1_S3_T3_PKT2_lPS5_l.has_recursion, 0
	.set _ZN9rocsparseL22dense_transpose_kernelILj32ELj8El21rocsparse_complex_numIfES2_EEvT1_S3_T3_PKT2_lPS5_l.has_indirect_call, 0
	.section	.AMDGPU.csdata,"",@progbits
; Kernel info:
; codeLenInByte = 1088
; TotalNumSgprs: 20
; NumVgprs: 34
; ScratchSize: 0
; MemoryBound: 0
; FloatMode: 240
; IeeeMode: 1
; LDSByteSize: 8192 bytes/workgroup (compile time only)
; SGPRBlocks: 0
; VGPRBlocks: 2
; NumSGPRsForWavesPerEU: 20
; NumVGPRsForWavesPerEU: 34
; NamedBarCnt: 0
; Occupancy: 16
; WaveLimiterHint : 0
; COMPUTE_PGM_RSRC2:SCRATCH_EN: 0
; COMPUTE_PGM_RSRC2:USER_SGPR: 2
; COMPUTE_PGM_RSRC2:TRAP_HANDLER: 0
; COMPUTE_PGM_RSRC2:TGID_X_EN: 1
; COMPUTE_PGM_RSRC2:TGID_Y_EN: 0
; COMPUTE_PGM_RSRC2:TGID_Z_EN: 0
; COMPUTE_PGM_RSRC2:TIDIG_COMP_CNT: 0
	.section	.text._ZN9rocsparseL22dense_transpose_kernelILj32ELj8El21rocsparse_complex_numIfEPKS2_EEvT1_S5_T3_PKT2_lPS7_l,"axG",@progbits,_ZN9rocsparseL22dense_transpose_kernelILj32ELj8El21rocsparse_complex_numIfEPKS2_EEvT1_S5_T3_PKT2_lPS7_l,comdat
	.globl	_ZN9rocsparseL22dense_transpose_kernelILj32ELj8El21rocsparse_complex_numIfEPKS2_EEvT1_S5_T3_PKT2_lPS7_l ; -- Begin function _ZN9rocsparseL22dense_transpose_kernelILj32ELj8El21rocsparse_complex_numIfEPKS2_EEvT1_S5_T3_PKT2_lPS7_l
	.p2align	8
	.type	_ZN9rocsparseL22dense_transpose_kernelILj32ELj8El21rocsparse_complex_numIfEPKS2_EEvT1_S5_T3_PKT2_lPS7_l,@function
_ZN9rocsparseL22dense_transpose_kernelILj32ELj8El21rocsparse_complex_numIfEPKS2_EEvT1_S5_T3_PKT2_lPS7_l: ; @_ZN9rocsparseL22dense_transpose_kernelILj32ELj8El21rocsparse_complex_numIfEPKS2_EEvT1_S5_T3_PKT2_lPS7_l
; %bb.0:
	s_load_b256 s[4:11], s[0:1], 0x0
	s_wait_kmcnt 0x0
	v_cmp_lt_i64_e64 s2, s[6:7], 1
	s_and_b32 vcc_lo, exec_lo, s2
	s_cbranch_vccnz .LBB13_20
; %bb.1:
	s_load_b256 s[12:19], s[0:1], 0x20
	s_bfe_u32 s2, ttmp6, 0x4000c
	s_wait_xcnt 0x0
	s_and_b32 s0, ttmp6, 15
	s_add_co_i32 s2, s2, 1
	v_dual_mov_b32 v5, 0 :: v_dual_lshrrev_b32 v2, 5, v0
	s_mul_i32 s1, ttmp9, s2
	s_getreg_b32 s2, hwreg(HW_REG_IB_STS2, 6, 4)
	s_add_co_i32 s0, s0, s1
	s_cmp_eq_u32 s2, 0
	s_wait_kmcnt 0x0
	s_load_b64 s[18:19], s[8:9], 0x0
	s_cselect_b32 s0, ttmp9, s0
	v_and_b32_e32 v0, 31, v0
	s_lshl_b32 s1, s0, 5
	s_delay_alu instid0(SALU_CYCLE_1) | instskip(SKIP_1) | instid1(VALU_DEP_3)
	v_dual_mov_b32 v7, v5 :: v_dual_bitop2_b32 v4, s1, v2 bitop3:0x54
	v_dual_mov_b32 v3, v5 :: v_dual_mov_b32 v9, v5
	v_dual_mov_b32 v11, v5 :: v_dual_bitop2_b32 v30, s1, v0 bitop3:0x54
	s_delay_alu instid0(VALU_DEP_3)
	v_cmp_le_i64_e64 s0, s[4:5], v[4:5]
	v_or_b32_e32 v6, 8, v4
	v_or_b32_e32 v8, 16, v4
	v_or_b32_e32 v10, 24, v4
	v_mul_u64_e32 v[12:13], s[16:17], v[4:5]
	v_dual_mov_b32 v31, v5 :: v_dual_bitop2_b32 v4, 24, v2 bitop3:0x54
	v_lshlrev_b32_e32 v27, 3, v2
	v_mul_u64_e32 v[16:17], s[16:17], v[6:7]
	v_mul_u64_e32 v[22:23], s[12:13], v[2:3]
	s_delay_alu instid0(VALU_DEP_4) | instskip(SKIP_4) | instid1(VALU_DEP_4)
	v_mul_u64_e32 v[14:15], s[12:13], v[4:5]
	v_dual_mov_b32 v1, v5 :: v_dual_bitop2_b32 v4, 16, v2 bitop3:0x54
	v_mul_u64_e32 v[20:21], s[16:17], v[8:9]
	v_mul_u64_e32 v[28:29], s[16:17], v[10:11]
	v_cmp_le_i64_e64 s2, s[4:5], v[6:7]
	v_mul_u64_e32 v[18:19], s[12:13], v[4:5]
	v_or_b32_e32 v4, 8, v2
	v_cmp_le_i64_e64 s3, s[4:5], v[8:9]
	v_lshl_or_b32 v27, v0, 8, v27
	s_wait_kmcnt 0x0
	s_xor_b32 s8, s19, 0x80000000
	s_mov_b32 s9, s18
	v_mul_u64_e32 v[24:25], s[12:13], v[4:5]
	v_lshlrev_b32_e32 v4, 3, v0
	v_cmp_gt_i64_e64 s1, s[4:5], v[30:31]
	v_cmp_le_i64_e64 s4, s[4:5], v[10:11]
	s_delay_alu instid0(VALU_DEP_3)
	v_lshl_or_b32 v26, v2, 8, v4
	v_lshl_add_u64 v[6:7], v[12:13], 3, s[14:15]
	v_lshl_add_u64 v[8:9], v[16:17], 3, s[14:15]
	v_lshlrev_b64_e32 v[12:13], 3, v[22:23]
	v_lshlrev_b64_e32 v[14:15], 3, v[14:15]
	v_lshl_add_u64 v[22:23], v[30:31], 3, s[10:11]
	s_lshl_b64 s[10:11], s[12:13], 8
	v_lshl_add_u64 v[10:11], v[20:21], 3, s[14:15]
	v_lshl_add_u64 v[20:21], v[28:29], 3, s[14:15]
	s_mov_b64 s[12:13], 0
	v_lshlrev_b64_e32 v[16:17], 3, v[18:19]
	v_lshlrev_b64_e32 v[18:19], 3, v[24:25]
	s_branch .LBB13_3
.LBB13_2:                               ;   in Loop: Header=BB13_3 Depth=1
	s_wait_xcnt 0x0
	s_or_b32 exec_lo, exec_lo, s5
	s_add_nc_u64 s[12:13], s[12:13], 32
	v_add_nc_u64_e32 v[6:7], 0x100, v[6:7]
	v_cmp_lt_i64_e64 s5, s[12:13], s[6:7]
	v_add_nc_u64_e32 v[8:9], 0x100, v[8:9]
	v_add_nc_u64_e32 v[10:11], 0x100, v[10:11]
	;; [unrolled: 1-line block ×4, first 2 shown]
	s_and_b32 vcc_lo, exec_lo, s5
	s_cbranch_vccz .LBB13_20
.LBB13_3:                               ; =>This Inner Loop Header: Depth=1
	v_add_nc_u64_e32 v[24:25], s[12:13], v[2:3]
	s_barrier_signal -1
	s_barrier_wait -1
	s_delay_alu instid0(VALU_DEP_1) | instskip(SKIP_1) | instid1(SALU_CYCLE_1)
	v_cmp_gt_i64_e32 vcc_lo, s[6:7], v[24:25]
	s_and_b32 s14, s1, vcc_lo
	s_and_saveexec_b32 s5, s14
	s_cbranch_execz .LBB13_5
; %bb.4:                                ;   in Loop: Header=BB13_3 Depth=1
	v_add_nc_u64_e32 v[28:29], v[22:23], v[12:13]
	global_load_b64 v[28:29], v[28:29], off
	s_wait_loadcnt 0x0
	ds_store_b64 v26, v[28:29]
.LBB13_5:                               ;   in Loop: Header=BB13_3 Depth=1
	s_wait_xcnt 0x0
	s_or_b32 exec_lo, exec_lo, s5
	s_and_saveexec_b32 s5, s1
	s_cbranch_execz .LBB13_12
; %bb.6:                                ;   in Loop: Header=BB13_3 Depth=1
	v_add_nc_u64_e32 v[28:29], 8, v[24:25]
	s_mov_b32 s14, exec_lo
	s_delay_alu instid0(VALU_DEP_1)
	v_cmpx_gt_i64_e64 s[6:7], v[28:29]
	s_cbranch_execz .LBB13_8
; %bb.7:                                ;   in Loop: Header=BB13_3 Depth=1
	v_add_nc_u64_e32 v[28:29], v[22:23], v[18:19]
	global_load_b64 v[28:29], v[28:29], off
	s_wait_loadcnt 0x0
	ds_store_b64 v26, v[28:29] offset:2048
.LBB13_8:                               ;   in Loop: Header=BB13_3 Depth=1
	s_wait_xcnt 0x0
	s_or_b32 exec_lo, exec_lo, s14
	v_add_nc_u64_e32 v[28:29], 16, v[24:25]
	s_mov_b32 s14, exec_lo
	s_delay_alu instid0(VALU_DEP_1)
	v_cmpx_gt_i64_e64 s[6:7], v[28:29]
	s_cbranch_execz .LBB13_10
; %bb.9:                                ;   in Loop: Header=BB13_3 Depth=1
	v_add_nc_u64_e32 v[28:29], v[22:23], v[16:17]
	global_load_b64 v[28:29], v[28:29], off
	s_wait_loadcnt 0x0
	ds_store_b64 v26, v[28:29] offset:4096
.LBB13_10:                              ;   in Loop: Header=BB13_3 Depth=1
	s_wait_xcnt 0x0
	s_or_b32 exec_lo, exec_lo, s14
	v_add_nc_u64_e32 v[24:25], 24, v[24:25]
	s_delay_alu instid0(VALU_DEP_1)
	v_cmp_gt_i64_e32 vcc_lo, s[6:7], v[24:25]
	s_and_b32 exec_lo, exec_lo, vcc_lo
	s_cbranch_execz .LBB13_12
; %bb.11:                               ;   in Loop: Header=BB13_3 Depth=1
	v_add_nc_u64_e32 v[24:25], v[22:23], v[14:15]
	global_load_b64 v[24:25], v[24:25], off
	s_wait_loadcnt 0x0
	ds_store_b64 v26, v[24:25] offset:6144
.LBB13_12:                              ;   in Loop: Header=BB13_3 Depth=1
	s_wait_xcnt 0x0
	s_or_b32 exec_lo, exec_lo, s5
	v_add_nc_u64_e32 v[24:25], s[12:13], v[0:1]
	s_wait_dscnt 0x0
	s_barrier_signal -1
	s_barrier_wait -1
	s_delay_alu instid0(VALU_DEP_1) | instskip(SKIP_1) | instid1(SALU_CYCLE_1)
	v_cmp_le_i64_e32 vcc_lo, s[6:7], v[24:25]
	s_nor_b32 s14, vcc_lo, s0
	s_and_saveexec_b32 s5, s14
	s_cbranch_execnz .LBB13_16
; %bb.13:                               ;   in Loop: Header=BB13_3 Depth=1
	s_or_b32 exec_lo, exec_lo, s5
	s_nor_b32 s14, vcc_lo, s2
	s_delay_alu instid0(SALU_CYCLE_1)
	s_and_saveexec_b32 s5, s14
	s_cbranch_execnz .LBB13_17
.LBB13_14:                              ;   in Loop: Header=BB13_3 Depth=1
	s_or_b32 exec_lo, exec_lo, s5
	s_nor_b32 s14, vcc_lo, s3
	s_delay_alu instid0(SALU_CYCLE_1)
	s_and_saveexec_b32 s5, s14
	s_cbranch_execnz .LBB13_18
.LBB13_15:                              ;   in Loop: Header=BB13_3 Depth=1
	s_or_b32 exec_lo, exec_lo, s5
	s_nor_b32 s14, vcc_lo, s4
	s_delay_alu instid0(SALU_CYCLE_1)
	s_and_saveexec_b32 s5, s14
	s_cbranch_execz .LBB13_2
	s_branch .LBB13_19
.LBB13_16:                              ;   in Loop: Header=BB13_3 Depth=1
	ds_load_b64 v[24:25], v27
	v_mov_b64_e32 v[28:29], s[8:9]
	v_mov_b64_e32 v[30:31], s[18:19]
	v_add_nc_u64_e32 v[32:33], v[6:7], v[4:5]
	s_wait_dscnt 0x0
	s_delay_alu instid0(VALU_DEP_3) | instskip(NEXT) | instid1(VALU_DEP_1)
	v_pk_mul_f32 v[28:29], v[24:25], v[28:29] op_sel:[1,0]
	v_pk_fma_f32 v[24:25], v[30:31], v[24:25], v[28:29] op_sel_hi:[1,0,1]
	global_store_b64 v[32:33], v[24:25], off
	s_wait_xcnt 0x0
	s_or_b32 exec_lo, exec_lo, s5
	s_nor_b32 s14, vcc_lo, s2
	s_delay_alu instid0(SALU_CYCLE_1)
	s_and_saveexec_b32 s5, s14
	s_cbranch_execz .LBB13_14
.LBB13_17:                              ;   in Loop: Header=BB13_3 Depth=1
	ds_load_b64 v[24:25], v27 offset:64
	v_mov_b64_e32 v[28:29], s[8:9]
	v_mov_b64_e32 v[30:31], s[18:19]
	v_add_nc_u64_e32 v[32:33], v[8:9], v[4:5]
	s_wait_dscnt 0x0
	s_delay_alu instid0(VALU_DEP_3) | instskip(NEXT) | instid1(VALU_DEP_1)
	v_pk_mul_f32 v[28:29], v[24:25], v[28:29] op_sel:[1,0]
	v_pk_fma_f32 v[24:25], v[30:31], v[24:25], v[28:29] op_sel_hi:[1,0,1]
	global_store_b64 v[32:33], v[24:25], off
	s_wait_xcnt 0x0
	s_or_b32 exec_lo, exec_lo, s5
	s_nor_b32 s14, vcc_lo, s3
	s_delay_alu instid0(SALU_CYCLE_1)
	s_and_saveexec_b32 s5, s14
	s_cbranch_execz .LBB13_15
.LBB13_18:                              ;   in Loop: Header=BB13_3 Depth=1
	ds_load_b64 v[24:25], v27 offset:128
	v_mov_b64_e32 v[28:29], s[8:9]
	v_mov_b64_e32 v[30:31], s[18:19]
	v_add_nc_u64_e32 v[32:33], v[10:11], v[4:5]
	s_wait_dscnt 0x0
	s_delay_alu instid0(VALU_DEP_3) | instskip(NEXT) | instid1(VALU_DEP_1)
	v_pk_mul_f32 v[28:29], v[24:25], v[28:29] op_sel:[1,0]
	v_pk_fma_f32 v[24:25], v[30:31], v[24:25], v[28:29] op_sel_hi:[1,0,1]
	global_store_b64 v[32:33], v[24:25], off
	s_wait_xcnt 0x0
	s_or_b32 exec_lo, exec_lo, s5
	s_nor_b32 s14, vcc_lo, s4
	s_delay_alu instid0(SALU_CYCLE_1)
	s_and_saveexec_b32 s5, s14
	s_cbranch_execz .LBB13_2
.LBB13_19:                              ;   in Loop: Header=BB13_3 Depth=1
	ds_load_b64 v[24:25], v27 offset:192
	v_mov_b64_e32 v[28:29], s[8:9]
	v_mov_b64_e32 v[30:31], s[18:19]
	v_add_nc_u64_e32 v[32:33], v[20:21], v[4:5]
	s_wait_dscnt 0x0
	s_delay_alu instid0(VALU_DEP_3) | instskip(NEXT) | instid1(VALU_DEP_1)
	v_pk_mul_f32 v[28:29], v[24:25], v[28:29] op_sel:[1,0]
	v_pk_fma_f32 v[24:25], v[30:31], v[24:25], v[28:29] op_sel_hi:[1,0,1]
	global_store_b64 v[32:33], v[24:25], off
	s_branch .LBB13_2
.LBB13_20:
	s_endpgm
	.section	.rodata,"a",@progbits
	.p2align	6, 0x0
	.amdhsa_kernel _ZN9rocsparseL22dense_transpose_kernelILj32ELj8El21rocsparse_complex_numIfEPKS2_EEvT1_S5_T3_PKT2_lPS7_l
		.amdhsa_group_segment_fixed_size 8192
		.amdhsa_private_segment_fixed_size 0
		.amdhsa_kernarg_size 56
		.amdhsa_user_sgpr_count 2
		.amdhsa_user_sgpr_dispatch_ptr 0
		.amdhsa_user_sgpr_queue_ptr 0
		.amdhsa_user_sgpr_kernarg_segment_ptr 1
		.amdhsa_user_sgpr_dispatch_id 0
		.amdhsa_user_sgpr_kernarg_preload_length 0
		.amdhsa_user_sgpr_kernarg_preload_offset 0
		.amdhsa_user_sgpr_private_segment_size 0
		.amdhsa_wavefront_size32 1
		.amdhsa_uses_dynamic_stack 0
		.amdhsa_enable_private_segment 0
		.amdhsa_system_sgpr_workgroup_id_x 1
		.amdhsa_system_sgpr_workgroup_id_y 0
		.amdhsa_system_sgpr_workgroup_id_z 0
		.amdhsa_system_sgpr_workgroup_info 0
		.amdhsa_system_vgpr_workitem_id 0
		.amdhsa_next_free_vgpr 34
		.amdhsa_next_free_sgpr 20
		.amdhsa_named_barrier_count 0
		.amdhsa_reserve_vcc 1
		.amdhsa_float_round_mode_32 0
		.amdhsa_float_round_mode_16_64 0
		.amdhsa_float_denorm_mode_32 3
		.amdhsa_float_denorm_mode_16_64 3
		.amdhsa_fp16_overflow 0
		.amdhsa_memory_ordered 1
		.amdhsa_forward_progress 1
		.amdhsa_inst_pref_size 9
		.amdhsa_round_robin_scheduling 0
		.amdhsa_exception_fp_ieee_invalid_op 0
		.amdhsa_exception_fp_denorm_src 0
		.amdhsa_exception_fp_ieee_div_zero 0
		.amdhsa_exception_fp_ieee_overflow 0
		.amdhsa_exception_fp_ieee_underflow 0
		.amdhsa_exception_fp_ieee_inexact 0
		.amdhsa_exception_int_div_zero 0
	.end_amdhsa_kernel
	.section	.text._ZN9rocsparseL22dense_transpose_kernelILj32ELj8El21rocsparse_complex_numIfEPKS2_EEvT1_S5_T3_PKT2_lPS7_l,"axG",@progbits,_ZN9rocsparseL22dense_transpose_kernelILj32ELj8El21rocsparse_complex_numIfEPKS2_EEvT1_S5_T3_PKT2_lPS7_l,comdat
.Lfunc_end13:
	.size	_ZN9rocsparseL22dense_transpose_kernelILj32ELj8El21rocsparse_complex_numIfEPKS2_EEvT1_S5_T3_PKT2_lPS7_l, .Lfunc_end13-_ZN9rocsparseL22dense_transpose_kernelILj32ELj8El21rocsparse_complex_numIfEPKS2_EEvT1_S5_T3_PKT2_lPS7_l
                                        ; -- End function
	.set _ZN9rocsparseL22dense_transpose_kernelILj32ELj8El21rocsparse_complex_numIfEPKS2_EEvT1_S5_T3_PKT2_lPS7_l.num_vgpr, 34
	.set _ZN9rocsparseL22dense_transpose_kernelILj32ELj8El21rocsparse_complex_numIfEPKS2_EEvT1_S5_T3_PKT2_lPS7_l.num_agpr, 0
	.set _ZN9rocsparseL22dense_transpose_kernelILj32ELj8El21rocsparse_complex_numIfEPKS2_EEvT1_S5_T3_PKT2_lPS7_l.numbered_sgpr, 20
	.set _ZN9rocsparseL22dense_transpose_kernelILj32ELj8El21rocsparse_complex_numIfEPKS2_EEvT1_S5_T3_PKT2_lPS7_l.num_named_barrier, 0
	.set _ZN9rocsparseL22dense_transpose_kernelILj32ELj8El21rocsparse_complex_numIfEPKS2_EEvT1_S5_T3_PKT2_lPS7_l.private_seg_size, 0
	.set _ZN9rocsparseL22dense_transpose_kernelILj32ELj8El21rocsparse_complex_numIfEPKS2_EEvT1_S5_T3_PKT2_lPS7_l.uses_vcc, 1
	.set _ZN9rocsparseL22dense_transpose_kernelILj32ELj8El21rocsparse_complex_numIfEPKS2_EEvT1_S5_T3_PKT2_lPS7_l.uses_flat_scratch, 0
	.set _ZN9rocsparseL22dense_transpose_kernelILj32ELj8El21rocsparse_complex_numIfEPKS2_EEvT1_S5_T3_PKT2_lPS7_l.has_dyn_sized_stack, 0
	.set _ZN9rocsparseL22dense_transpose_kernelILj32ELj8El21rocsparse_complex_numIfEPKS2_EEvT1_S5_T3_PKT2_lPS7_l.has_recursion, 0
	.set _ZN9rocsparseL22dense_transpose_kernelILj32ELj8El21rocsparse_complex_numIfEPKS2_EEvT1_S5_T3_PKT2_lPS7_l.has_indirect_call, 0
	.section	.AMDGPU.csdata,"",@progbits
; Kernel info:
; codeLenInByte = 1096
; TotalNumSgprs: 22
; NumVgprs: 34
; ScratchSize: 0
; MemoryBound: 0
; FloatMode: 240
; IeeeMode: 1
; LDSByteSize: 8192 bytes/workgroup (compile time only)
; SGPRBlocks: 0
; VGPRBlocks: 2
; NumSGPRsForWavesPerEU: 22
; NumVGPRsForWavesPerEU: 34
; NamedBarCnt: 0
; Occupancy: 16
; WaveLimiterHint : 0
; COMPUTE_PGM_RSRC2:SCRATCH_EN: 0
; COMPUTE_PGM_RSRC2:USER_SGPR: 2
; COMPUTE_PGM_RSRC2:TRAP_HANDLER: 0
; COMPUTE_PGM_RSRC2:TGID_X_EN: 1
; COMPUTE_PGM_RSRC2:TGID_Y_EN: 0
; COMPUTE_PGM_RSRC2:TGID_Z_EN: 0
; COMPUTE_PGM_RSRC2:TIDIG_COMP_CNT: 0
	.section	.text._ZN9rocsparseL22dense_transpose_kernelILj32ELj8El21rocsparse_complex_numIdES2_EEvT1_S3_T3_PKT2_lPS5_l,"axG",@progbits,_ZN9rocsparseL22dense_transpose_kernelILj32ELj8El21rocsparse_complex_numIdES2_EEvT1_S3_T3_PKT2_lPS5_l,comdat
	.globl	_ZN9rocsparseL22dense_transpose_kernelILj32ELj8El21rocsparse_complex_numIdES2_EEvT1_S3_T3_PKT2_lPS5_l ; -- Begin function _ZN9rocsparseL22dense_transpose_kernelILj32ELj8El21rocsparse_complex_numIdES2_EEvT1_S3_T3_PKT2_lPS5_l
	.p2align	8
	.type	_ZN9rocsparseL22dense_transpose_kernelILj32ELj8El21rocsparse_complex_numIdES2_EEvT1_S3_T3_PKT2_lPS5_l,@function
_ZN9rocsparseL22dense_transpose_kernelILj32ELj8El21rocsparse_complex_numIdES2_EEvT1_S3_T3_PKT2_lPS5_l: ; @_ZN9rocsparseL22dense_transpose_kernelILj32ELj8El21rocsparse_complex_numIdES2_EEvT1_S3_T3_PKT2_lPS5_l
; %bb.0:
	s_load_b512 s[4:19], s[0:1], 0x0
	s_wait_kmcnt 0x0
	v_cmp_lt_i64_e64 s0, s[6:7], 1
	s_and_b32 vcc_lo, exec_lo, s0
	s_cbranch_vccnz .LBB14_20
; %bb.1:
	s_bfe_u32 s0, ttmp6, 0x4000c
	s_and_b32 s1, ttmp6, 15
	s_add_co_i32 s0, s0, 1
	s_getreg_b32 s2, hwreg(HW_REG_IB_STS2, 6, 4)
	s_mul_i32 s0, ttmp9, s0
	v_dual_mov_b32 v5, 0 :: v_dual_lshrrev_b32 v2, 5, v0
	s_add_co_i32 s1, s1, s0
	s_cmp_eq_u32 s2, 0
	v_and_b32_e32 v0, 31, v0
	s_cselect_b32 s0, ttmp9, s1
	v_mov_b32_e32 v7, v5
	s_lshl_b32 s1, s0, 5
	s_delay_alu instid0(SALU_CYCLE_1) | instskip(SKIP_2) | instid1(VALU_DEP_3)
	v_dual_mov_b32 v9, v5 :: v_dual_bitop2_b32 v4, s1, v2 bitop3:0x54
	v_dual_mov_b32 v11, v5 :: v_dual_lshlrev_b32 v27, 4, v2
	v_dual_mov_b32 v3, v5 :: v_dual_mov_b32 v35, v5
	v_cmp_le_i64_e64 s0, s[4:5], v[4:5]
	v_or_b32_e32 v6, 8, v4
	v_or_b32_e32 v8, 16, v4
	;; [unrolled: 1-line block ×3, first 2 shown]
	v_mul_u64_e32 v[12:13], s[18:19], v[4:5]
	v_or_b32_e32 v4, 8, v2
	v_mul_u64_e32 v[14:15], s[18:19], v[6:7]
	v_mul_u64_e32 v[18:19], s[18:19], v[8:9]
	;; [unrolled: 1-line block ×5, first 2 shown]
	v_dual_mov_b32 v1, v5 :: v_dual_bitop2_b32 v4, 24, v2 bitop3:0x54
	v_cmp_le_i64_e64 s2, s[4:5], v[6:7]
	v_or_b32_e32 v34, s1, v0
	v_cmp_le_i64_e64 s3, s[4:5], v[8:9]
	s_delay_alu instid0(VALU_DEP_4) | instskip(SKIP_4) | instid1(VALU_DEP_4)
	v_mul_u64_e32 v[22:23], s[14:15], v[4:5]
	v_or_b32_e32 v4, 16, v2
	v_lshl_or_b32 v27, v0, 9, v27
	v_cmp_gt_i64_e64 s1, s[4:5], v[34:35]
	v_cmp_le_i64_e64 s4, s[4:5], v[10:11]
	v_mul_u64_e32 v[32:33], s[14:15], v[4:5]
	v_lshlrev_b32_e32 v4, 4, v0
	s_delay_alu instid0(VALU_DEP_1) | instskip(NEXT) | instid1(VALU_DEP_1)
	v_lshl_or_b32 v26, v2, 9, v4
	v_or_b32_e32 v28, 0x1000, v26
	v_or_b32_e32 v29, 0x2000, v26
	;; [unrolled: 1-line block ×3, first 2 shown]
	v_lshl_add_u64 v[6:7], v[12:13], 4, s[16:17]
	v_lshl_add_u64 v[8:9], v[14:15], 4, s[16:17]
	;; [unrolled: 1-line block ×4, first 2 shown]
	s_delay_alu instid0(VALU_DEP_4)
	v_add_nc_u64_e32 v[6:7], 8, v[6:7]
	v_lshlrev_b64_e32 v[10:11], 4, v[16:17]
	v_add_nc_u64_e32 v[8:9], 8, v[8:9]
	v_add_nc_u64_e32 v[12:13], 8, v[12:13]
	;; [unrolled: 1-line block ×3, first 2 shown]
	v_lshlrev_b64_e32 v[16:17], 4, v[24:25]
	v_lshlrev_b64_e32 v[18:19], 4, v[22:23]
	v_lshl_add_u64 v[22:23], v[34:35], 4, s[12:13]
	s_lshl_b64 s[12:13], s[14:15], 9
	s_mov_b64 s[14:15], 0
	v_lshlrev_b64_e32 v[20:21], 4, v[32:33]
	s_branch .LBB14_3
.LBB14_2:                               ;   in Loop: Header=BB14_3 Depth=1
	s_wait_xcnt 0x0
	s_or_b32 exec_lo, exec_lo, s5
	s_add_nc_u64 s[14:15], s[14:15], 32
	v_add_nc_u64_e32 v[6:7], 0x200, v[6:7]
	v_cmp_lt_i64_e64 s5, s[14:15], s[6:7]
	v_add_nc_u64_e32 v[8:9], 0x200, v[8:9]
	v_add_nc_u64_e32 v[22:23], s[12:13], v[22:23]
	;; [unrolled: 1-line block ×4, first 2 shown]
	s_and_b32 vcc_lo, exec_lo, s5
	s_cbranch_vccz .LBB14_20
.LBB14_3:                               ; =>This Inner Loop Header: Depth=1
	v_add_nc_u64_e32 v[24:25], s[14:15], v[2:3]
	s_barrier_signal -1
	s_barrier_wait -1
	s_delay_alu instid0(VALU_DEP_1) | instskip(SKIP_1) | instid1(SALU_CYCLE_1)
	v_cmp_gt_i64_e32 vcc_lo, s[6:7], v[24:25]
	s_and_b32 s16, s1, vcc_lo
	s_and_saveexec_b32 s5, s16
	s_cbranch_execz .LBB14_5
; %bb.4:                                ;   in Loop: Header=BB14_3 Depth=1
	v_add_nc_u64_e32 v[32:33], v[22:23], v[16:17]
	global_load_b128 v[32:35], v[32:33], off
	s_wait_loadcnt 0x0
	ds_store_2addr_b64 v26, v[32:33], v[34:35] offset1:1
.LBB14_5:                               ;   in Loop: Header=BB14_3 Depth=1
	s_wait_xcnt 0x0
	s_or_b32 exec_lo, exec_lo, s5
	s_and_saveexec_b32 s5, s1
	s_cbranch_execz .LBB14_12
; %bb.6:                                ;   in Loop: Header=BB14_3 Depth=1
	v_add_nc_u64_e32 v[32:33], 8, v[24:25]
	s_mov_b32 s16, exec_lo
	s_delay_alu instid0(VALU_DEP_1)
	v_cmpx_gt_i64_e64 s[6:7], v[32:33]
	s_cbranch_execz .LBB14_8
; %bb.7:                                ;   in Loop: Header=BB14_3 Depth=1
	v_add_nc_u64_e32 v[32:33], v[22:23], v[10:11]
	global_load_b128 v[32:35], v[32:33], off
	s_wait_loadcnt 0x0
	ds_store_2addr_b64 v28, v[32:33], v[34:35] offset1:1
.LBB14_8:                               ;   in Loop: Header=BB14_3 Depth=1
	s_wait_xcnt 0x0
	s_or_b32 exec_lo, exec_lo, s16
	v_add_nc_u64_e32 v[32:33], 16, v[24:25]
	s_mov_b32 s16, exec_lo
	s_delay_alu instid0(VALU_DEP_1)
	v_cmpx_gt_i64_e64 s[6:7], v[32:33]
	s_cbranch_execz .LBB14_10
; %bb.9:                                ;   in Loop: Header=BB14_3 Depth=1
	v_add_nc_u64_e32 v[32:33], v[22:23], v[20:21]
	global_load_b128 v[32:35], v[32:33], off
	s_wait_loadcnt 0x0
	ds_store_2addr_b64 v29, v[32:33], v[34:35] offset1:1
.LBB14_10:                              ;   in Loop: Header=BB14_3 Depth=1
	s_wait_xcnt 0x0
	s_or_b32 exec_lo, exec_lo, s16
	v_add_nc_u64_e32 v[24:25], 24, v[24:25]
	s_delay_alu instid0(VALU_DEP_1)
	v_cmp_gt_i64_e32 vcc_lo, s[6:7], v[24:25]
	s_and_b32 exec_lo, exec_lo, vcc_lo
	s_cbranch_execz .LBB14_12
; %bb.11:                               ;   in Loop: Header=BB14_3 Depth=1
	v_add_nc_u64_e32 v[24:25], v[22:23], v[18:19]
	global_load_b128 v[32:35], v[24:25], off
	s_wait_loadcnt 0x0
	ds_store_2addr_b64 v30, v[32:33], v[34:35] offset1:1
.LBB14_12:                              ;   in Loop: Header=BB14_3 Depth=1
	s_wait_xcnt 0x0
	s_or_b32 exec_lo, exec_lo, s5
	v_add_nc_u64_e32 v[24:25], s[14:15], v[0:1]
	s_wait_dscnt 0x0
	s_barrier_signal -1
	s_barrier_wait -1
	s_delay_alu instid0(VALU_DEP_1) | instskip(SKIP_1) | instid1(SALU_CYCLE_1)
	v_cmp_le_i64_e32 vcc_lo, s[6:7], v[24:25]
	s_nor_b32 s16, vcc_lo, s0
	s_and_saveexec_b32 s5, s16
	s_cbranch_execnz .LBB14_16
; %bb.13:                               ;   in Loop: Header=BB14_3 Depth=1
	s_or_b32 exec_lo, exec_lo, s5
	s_nor_b32 s16, vcc_lo, s2
	s_delay_alu instid0(SALU_CYCLE_1)
	s_and_saveexec_b32 s5, s16
	s_cbranch_execnz .LBB14_17
.LBB14_14:                              ;   in Loop: Header=BB14_3 Depth=1
	s_or_b32 exec_lo, exec_lo, s5
	s_nor_b32 s16, vcc_lo, s3
	s_delay_alu instid0(SALU_CYCLE_1)
	s_and_saveexec_b32 s5, s16
	s_cbranch_execnz .LBB14_18
.LBB14_15:                              ;   in Loop: Header=BB14_3 Depth=1
	s_or_b32 exec_lo, exec_lo, s5
	s_nor_b32 s16, vcc_lo, s4
	s_delay_alu instid0(SALU_CYCLE_1)
	s_and_saveexec_b32 s5, s16
	s_cbranch_execz .LBB14_2
	s_branch .LBB14_19
.LBB14_16:                              ;   in Loop: Header=BB14_3 Depth=1
	ds_load_b128 v[32:35], v27
	v_add_nc_u64_e32 v[24:25], v[6:7], v[4:5]
	s_wait_dscnt 0x0
	v_mul_f64_e64 v[36:37], v[34:35], -s[10:11]
	v_mul_f64_e32 v[38:39], s[8:9], v[34:35]
	s_delay_alu instid0(VALU_DEP_2) | instskip(NEXT) | instid1(VALU_DEP_2)
	v_fmac_f64_e32 v[36:37], s[8:9], v[32:33]
	v_fmac_f64_e32 v[38:39], s[10:11], v[32:33]
	global_store_b128 v[24:25], v[36:39], off offset:-8
	s_wait_xcnt 0x0
	s_or_b32 exec_lo, exec_lo, s5
	s_nor_b32 s16, vcc_lo, s2
	s_delay_alu instid0(SALU_CYCLE_1)
	s_and_saveexec_b32 s5, s16
	s_cbranch_execz .LBB14_14
.LBB14_17:                              ;   in Loop: Header=BB14_3 Depth=1
	ds_load_b128 v[32:35], v27 offset:128
	v_add_nc_u64_e32 v[24:25], v[8:9], v[4:5]
	s_wait_dscnt 0x0
	v_mul_f64_e64 v[36:37], v[34:35], -s[10:11]
	v_mul_f64_e32 v[38:39], s[8:9], v[34:35]
	s_delay_alu instid0(VALU_DEP_2) | instskip(NEXT) | instid1(VALU_DEP_2)
	v_fmac_f64_e32 v[36:37], s[8:9], v[32:33]
	v_fmac_f64_e32 v[38:39], s[10:11], v[32:33]
	global_store_b128 v[24:25], v[36:39], off offset:-8
	s_wait_xcnt 0x0
	s_or_b32 exec_lo, exec_lo, s5
	s_nor_b32 s16, vcc_lo, s3
	s_delay_alu instid0(SALU_CYCLE_1)
	s_and_saveexec_b32 s5, s16
	s_cbranch_execz .LBB14_15
.LBB14_18:                              ;   in Loop: Header=BB14_3 Depth=1
	ds_load_b128 v[32:35], v27 offset:256
	v_add_nc_u64_e32 v[24:25], v[12:13], v[4:5]
	s_wait_dscnt 0x0
	v_mul_f64_e64 v[36:37], v[34:35], -s[10:11]
	v_mul_f64_e32 v[38:39], s[8:9], v[34:35]
	s_delay_alu instid0(VALU_DEP_2) | instskip(NEXT) | instid1(VALU_DEP_2)
	v_fmac_f64_e32 v[36:37], s[8:9], v[32:33]
	v_fmac_f64_e32 v[38:39], s[10:11], v[32:33]
	global_store_b128 v[24:25], v[36:39], off offset:-8
	s_wait_xcnt 0x0
	s_or_b32 exec_lo, exec_lo, s5
	s_nor_b32 s16, vcc_lo, s4
	s_delay_alu instid0(SALU_CYCLE_1)
	s_and_saveexec_b32 s5, s16
	s_cbranch_execz .LBB14_2
.LBB14_19:                              ;   in Loop: Header=BB14_3 Depth=1
	ds_load_b128 v[32:35], v27 offset:384
	v_add_nc_u64_e32 v[24:25], v[14:15], v[4:5]
	s_wait_dscnt 0x0
	v_mul_f64_e64 v[36:37], v[34:35], -s[10:11]
	v_mul_f64_e32 v[38:39], s[8:9], v[34:35]
	s_delay_alu instid0(VALU_DEP_2) | instskip(NEXT) | instid1(VALU_DEP_2)
	v_fmac_f64_e32 v[36:37], s[8:9], v[32:33]
	v_fmac_f64_e32 v[38:39], s[10:11], v[32:33]
	global_store_b128 v[24:25], v[36:39], off offset:-8
	s_branch .LBB14_2
.LBB14_20:
	s_endpgm
	.section	.rodata,"a",@progbits
	.p2align	6, 0x0
	.amdhsa_kernel _ZN9rocsparseL22dense_transpose_kernelILj32ELj8El21rocsparse_complex_numIdES2_EEvT1_S3_T3_PKT2_lPS5_l
		.amdhsa_group_segment_fixed_size 16384
		.amdhsa_private_segment_fixed_size 0
		.amdhsa_kernarg_size 64
		.amdhsa_user_sgpr_count 2
		.amdhsa_user_sgpr_dispatch_ptr 0
		.amdhsa_user_sgpr_queue_ptr 0
		.amdhsa_user_sgpr_kernarg_segment_ptr 1
		.amdhsa_user_sgpr_dispatch_id 0
		.amdhsa_user_sgpr_kernarg_preload_length 0
		.amdhsa_user_sgpr_kernarg_preload_offset 0
		.amdhsa_user_sgpr_private_segment_size 0
		.amdhsa_wavefront_size32 1
		.amdhsa_uses_dynamic_stack 0
		.amdhsa_enable_private_segment 0
		.amdhsa_system_sgpr_workgroup_id_x 1
		.amdhsa_system_sgpr_workgroup_id_y 0
		.amdhsa_system_sgpr_workgroup_id_z 0
		.amdhsa_system_sgpr_workgroup_info 0
		.amdhsa_system_vgpr_workitem_id 0
		.amdhsa_next_free_vgpr 40
		.amdhsa_next_free_sgpr 20
		.amdhsa_named_barrier_count 0
		.amdhsa_reserve_vcc 1
		.amdhsa_float_round_mode_32 0
		.amdhsa_float_round_mode_16_64 0
		.amdhsa_float_denorm_mode_32 3
		.amdhsa_float_denorm_mode_16_64 3
		.amdhsa_fp16_overflow 0
		.amdhsa_memory_ordered 1
		.amdhsa_forward_progress 1
		.amdhsa_inst_pref_size 9
		.amdhsa_round_robin_scheduling 0
		.amdhsa_exception_fp_ieee_invalid_op 0
		.amdhsa_exception_fp_denorm_src 0
		.amdhsa_exception_fp_ieee_div_zero 0
		.amdhsa_exception_fp_ieee_overflow 0
		.amdhsa_exception_fp_ieee_underflow 0
		.amdhsa_exception_fp_ieee_inexact 0
		.amdhsa_exception_int_div_zero 0
	.end_amdhsa_kernel
	.section	.text._ZN9rocsparseL22dense_transpose_kernelILj32ELj8El21rocsparse_complex_numIdES2_EEvT1_S3_T3_PKT2_lPS5_l,"axG",@progbits,_ZN9rocsparseL22dense_transpose_kernelILj32ELj8El21rocsparse_complex_numIdES2_EEvT1_S3_T3_PKT2_lPS5_l,comdat
.Lfunc_end14:
	.size	_ZN9rocsparseL22dense_transpose_kernelILj32ELj8El21rocsparse_complex_numIdES2_EEvT1_S3_T3_PKT2_lPS5_l, .Lfunc_end14-_ZN9rocsparseL22dense_transpose_kernelILj32ELj8El21rocsparse_complex_numIdES2_EEvT1_S3_T3_PKT2_lPS5_l
                                        ; -- End function
	.set _ZN9rocsparseL22dense_transpose_kernelILj32ELj8El21rocsparse_complex_numIdES2_EEvT1_S3_T3_PKT2_lPS5_l.num_vgpr, 40
	.set _ZN9rocsparseL22dense_transpose_kernelILj32ELj8El21rocsparse_complex_numIdES2_EEvT1_S3_T3_PKT2_lPS5_l.num_agpr, 0
	.set _ZN9rocsparseL22dense_transpose_kernelILj32ELj8El21rocsparse_complex_numIdES2_EEvT1_S3_T3_PKT2_lPS5_l.numbered_sgpr, 20
	.set _ZN9rocsparseL22dense_transpose_kernelILj32ELj8El21rocsparse_complex_numIdES2_EEvT1_S3_T3_PKT2_lPS5_l.num_named_barrier, 0
	.set _ZN9rocsparseL22dense_transpose_kernelILj32ELj8El21rocsparse_complex_numIdES2_EEvT1_S3_T3_PKT2_lPS5_l.private_seg_size, 0
	.set _ZN9rocsparseL22dense_transpose_kernelILj32ELj8El21rocsparse_complex_numIdES2_EEvT1_S3_T3_PKT2_lPS5_l.uses_vcc, 1
	.set _ZN9rocsparseL22dense_transpose_kernelILj32ELj8El21rocsparse_complex_numIdES2_EEvT1_S3_T3_PKT2_lPS5_l.uses_flat_scratch, 0
	.set _ZN9rocsparseL22dense_transpose_kernelILj32ELj8El21rocsparse_complex_numIdES2_EEvT1_S3_T3_PKT2_lPS5_l.has_dyn_sized_stack, 0
	.set _ZN9rocsparseL22dense_transpose_kernelILj32ELj8El21rocsparse_complex_numIdES2_EEvT1_S3_T3_PKT2_lPS5_l.has_recursion, 0
	.set _ZN9rocsparseL22dense_transpose_kernelILj32ELj8El21rocsparse_complex_numIdES2_EEvT1_S3_T3_PKT2_lPS5_l.has_indirect_call, 0
	.section	.AMDGPU.csdata,"",@progbits
; Kernel info:
; codeLenInByte = 1076
; TotalNumSgprs: 22
; NumVgprs: 40
; ScratchSize: 0
; MemoryBound: 0
; FloatMode: 240
; IeeeMode: 1
; LDSByteSize: 16384 bytes/workgroup (compile time only)
; SGPRBlocks: 0
; VGPRBlocks: 2
; NumSGPRsForWavesPerEU: 22
; NumVGPRsForWavesPerEU: 40
; NamedBarCnt: 0
; Occupancy: 16
; WaveLimiterHint : 0
; COMPUTE_PGM_RSRC2:SCRATCH_EN: 0
; COMPUTE_PGM_RSRC2:USER_SGPR: 2
; COMPUTE_PGM_RSRC2:TRAP_HANDLER: 0
; COMPUTE_PGM_RSRC2:TGID_X_EN: 1
; COMPUTE_PGM_RSRC2:TGID_Y_EN: 0
; COMPUTE_PGM_RSRC2:TGID_Z_EN: 0
; COMPUTE_PGM_RSRC2:TIDIG_COMP_CNT: 0
	.section	.text._ZN9rocsparseL22dense_transpose_kernelILj32ELj8El21rocsparse_complex_numIdEPKS2_EEvT1_S5_T3_PKT2_lPS7_l,"axG",@progbits,_ZN9rocsparseL22dense_transpose_kernelILj32ELj8El21rocsparse_complex_numIdEPKS2_EEvT1_S5_T3_PKT2_lPS7_l,comdat
	.globl	_ZN9rocsparseL22dense_transpose_kernelILj32ELj8El21rocsparse_complex_numIdEPKS2_EEvT1_S5_T3_PKT2_lPS7_l ; -- Begin function _ZN9rocsparseL22dense_transpose_kernelILj32ELj8El21rocsparse_complex_numIdEPKS2_EEvT1_S5_T3_PKT2_lPS7_l
	.p2align	8
	.type	_ZN9rocsparseL22dense_transpose_kernelILj32ELj8El21rocsparse_complex_numIdEPKS2_EEvT1_S5_T3_PKT2_lPS7_l,@function
_ZN9rocsparseL22dense_transpose_kernelILj32ELj8El21rocsparse_complex_numIdEPKS2_EEvT1_S5_T3_PKT2_lPS7_l: ; @_ZN9rocsparseL22dense_transpose_kernelILj32ELj8El21rocsparse_complex_numIdEPKS2_EEvT1_S5_T3_PKT2_lPS7_l
; %bb.0:
	s_load_b256 s[4:11], s[0:1], 0x0
	s_wait_kmcnt 0x0
	v_cmp_lt_i64_e64 s2, s[6:7], 1
	s_and_b32 vcc_lo, exec_lo, s2
	s_cbranch_vccnz .LBB15_20
; %bb.1:
	s_load_b256 s[12:19], s[0:1], 0x20
	s_bfe_u32 s2, ttmp6, 0x4000c
	s_wait_xcnt 0x0
	s_and_b32 s0, ttmp6, 15
	s_add_co_i32 s2, s2, 1
	v_dual_mov_b32 v5, 0 :: v_dual_lshrrev_b32 v2, 5, v0
	s_mul_i32 s1, ttmp9, s2
	s_getreg_b32 s2, hwreg(HW_REG_IB_STS2, 6, 4)
	s_add_co_i32 s0, s0, s1
	s_cmp_eq_u32 s2, 0
	v_and_b32_e32 v0, 31, v0
	s_cselect_b32 s0, ttmp9, s0
	v_mov_b32_e32 v7, v5
	s_lshl_b32 s1, s0, 5
	s_delay_alu instid0(SALU_CYCLE_1) | instskip(SKIP_2) | instid1(VALU_DEP_3)
	v_dual_mov_b32 v9, v5 :: v_dual_bitop2_b32 v4, s1, v2 bitop3:0x54
	v_dual_mov_b32 v11, v5 :: v_dual_mov_b32 v3, v5
	v_dual_mov_b32 v35, v5 :: v_dual_lshlrev_b32 v27, 4, v2
	v_cmp_le_i64_e64 s0, s[4:5], v[4:5]
	v_or_b32_e32 v6, 8, v4
	v_or_b32_e32 v8, 16, v4
	;; [unrolled: 1-line block ×3, first 2 shown]
	s_wait_kmcnt 0x0
	v_mul_u64_e32 v[12:13], s[16:17], v[4:5]
	v_or_b32_e32 v4, 8, v2
	v_mul_u64_e32 v[14:15], s[16:17], v[6:7]
	v_mul_u64_e32 v[18:19], s[16:17], v[8:9]
	;; [unrolled: 1-line block ×5, first 2 shown]
	v_dual_mov_b32 v1, v5 :: v_dual_bitop2_b32 v4, 24, v2 bitop3:0x54
	s_load_b128 s[16:19], s[8:9], 0x0
	v_cmp_le_i64_e64 s2, s[4:5], v[6:7]
	v_or_b32_e32 v34, s1, v0
	s_delay_alu instid0(VALU_DEP_3)
	v_mul_u64_e32 v[22:23], s[12:13], v[4:5]
	v_or_b32_e32 v4, 16, v2
	v_cmp_le_i64_e64 s3, s[4:5], v[8:9]
	v_lshl_or_b32 v27, v0, 9, v27
	v_cmp_gt_i64_e64 s1, s[4:5], v[34:35]
	v_cmp_le_i64_e64 s4, s[4:5], v[10:11]
	v_mul_u64_e32 v[32:33], s[12:13], v[4:5]
	v_lshlrev_b32_e32 v4, 4, v0
	s_wait_xcnt 0x0
	s_lshl_b64 s[8:9], s[12:13], 9
	s_delay_alu instid0(VALU_DEP_1) | instskip(NEXT) | instid1(VALU_DEP_1)
	v_lshl_or_b32 v26, v2, 9, v4
	v_or_b32_e32 v28, 0x1000, v26
	v_or_b32_e32 v29, 0x2000, v26
	;; [unrolled: 1-line block ×3, first 2 shown]
	v_lshl_add_u64 v[6:7], v[12:13], 4, s[14:15]
	v_lshl_add_u64 v[8:9], v[14:15], 4, s[14:15]
	;; [unrolled: 1-line block ×4, first 2 shown]
	s_delay_alu instid0(VALU_DEP_4)
	v_add_nc_u64_e32 v[6:7], 8, v[6:7]
	v_lshlrev_b64_e32 v[10:11], 4, v[16:17]
	v_add_nc_u64_e32 v[8:9], 8, v[8:9]
	v_add_nc_u64_e32 v[12:13], 8, v[12:13]
	;; [unrolled: 1-line block ×3, first 2 shown]
	v_lshlrev_b64_e32 v[16:17], 4, v[24:25]
	v_lshlrev_b64_e32 v[18:19], 4, v[22:23]
	v_lshl_add_u64 v[22:23], v[34:35], 4, s[10:11]
	s_mov_b64 s[10:11], 0
	v_lshlrev_b64_e32 v[20:21], 4, v[32:33]
	s_branch .LBB15_3
.LBB15_2:                               ;   in Loop: Header=BB15_3 Depth=1
	s_wait_xcnt 0x0
	s_or_b32 exec_lo, exec_lo, s5
	s_add_nc_u64 s[10:11], s[10:11], 32
	v_add_nc_u64_e32 v[6:7], 0x200, v[6:7]
	v_cmp_lt_i64_e64 s5, s[10:11], s[6:7]
	v_add_nc_u64_e32 v[8:9], 0x200, v[8:9]
	v_add_nc_u64_e32 v[22:23], s[8:9], v[22:23]
	;; [unrolled: 1-line block ×4, first 2 shown]
	s_and_b32 vcc_lo, exec_lo, s5
	s_cbranch_vccz .LBB15_20
.LBB15_3:                               ; =>This Inner Loop Header: Depth=1
	v_add_nc_u64_e32 v[24:25], s[10:11], v[2:3]
	s_barrier_signal -1
	s_barrier_wait -1
	s_delay_alu instid0(VALU_DEP_1) | instskip(SKIP_1) | instid1(SALU_CYCLE_1)
	v_cmp_gt_i64_e32 vcc_lo, s[6:7], v[24:25]
	s_and_b32 s12, s1, vcc_lo
	s_and_saveexec_b32 s5, s12
	s_cbranch_execz .LBB15_5
; %bb.4:                                ;   in Loop: Header=BB15_3 Depth=1
	v_add_nc_u64_e32 v[32:33], v[22:23], v[16:17]
	global_load_b128 v[32:35], v[32:33], off
	s_wait_loadcnt 0x0
	ds_store_2addr_b64 v26, v[32:33], v[34:35] offset1:1
.LBB15_5:                               ;   in Loop: Header=BB15_3 Depth=1
	s_wait_xcnt 0x0
	s_or_b32 exec_lo, exec_lo, s5
	s_and_saveexec_b32 s5, s1
	s_cbranch_execz .LBB15_12
; %bb.6:                                ;   in Loop: Header=BB15_3 Depth=1
	v_add_nc_u64_e32 v[32:33], 8, v[24:25]
	s_mov_b32 s12, exec_lo
	s_delay_alu instid0(VALU_DEP_1)
	v_cmpx_gt_i64_e64 s[6:7], v[32:33]
	s_cbranch_execz .LBB15_8
; %bb.7:                                ;   in Loop: Header=BB15_3 Depth=1
	v_add_nc_u64_e32 v[32:33], v[22:23], v[10:11]
	global_load_b128 v[32:35], v[32:33], off
	s_wait_loadcnt 0x0
	ds_store_2addr_b64 v28, v[32:33], v[34:35] offset1:1
.LBB15_8:                               ;   in Loop: Header=BB15_3 Depth=1
	s_wait_xcnt 0x0
	s_or_b32 exec_lo, exec_lo, s12
	v_add_nc_u64_e32 v[32:33], 16, v[24:25]
	s_mov_b32 s12, exec_lo
	s_delay_alu instid0(VALU_DEP_1)
	v_cmpx_gt_i64_e64 s[6:7], v[32:33]
	s_cbranch_execz .LBB15_10
; %bb.9:                                ;   in Loop: Header=BB15_3 Depth=1
	v_add_nc_u64_e32 v[32:33], v[22:23], v[20:21]
	global_load_b128 v[32:35], v[32:33], off
	s_wait_loadcnt 0x0
	ds_store_2addr_b64 v29, v[32:33], v[34:35] offset1:1
.LBB15_10:                              ;   in Loop: Header=BB15_3 Depth=1
	s_wait_xcnt 0x0
	s_or_b32 exec_lo, exec_lo, s12
	v_add_nc_u64_e32 v[24:25], 24, v[24:25]
	s_delay_alu instid0(VALU_DEP_1)
	v_cmp_gt_i64_e32 vcc_lo, s[6:7], v[24:25]
	s_and_b32 exec_lo, exec_lo, vcc_lo
	s_cbranch_execz .LBB15_12
; %bb.11:                               ;   in Loop: Header=BB15_3 Depth=1
	v_add_nc_u64_e32 v[24:25], v[22:23], v[18:19]
	global_load_b128 v[32:35], v[24:25], off
	s_wait_loadcnt 0x0
	ds_store_2addr_b64 v30, v[32:33], v[34:35] offset1:1
.LBB15_12:                              ;   in Loop: Header=BB15_3 Depth=1
	s_wait_xcnt 0x0
	s_or_b32 exec_lo, exec_lo, s5
	v_add_nc_u64_e32 v[24:25], s[10:11], v[0:1]
	s_wait_dscnt 0x0
	s_barrier_signal -1
	s_barrier_wait -1
	s_delay_alu instid0(VALU_DEP_1) | instskip(SKIP_1) | instid1(SALU_CYCLE_1)
	v_cmp_le_i64_e32 vcc_lo, s[6:7], v[24:25]
	s_nor_b32 s12, vcc_lo, s0
	s_and_saveexec_b32 s5, s12
	s_cbranch_execnz .LBB15_16
; %bb.13:                               ;   in Loop: Header=BB15_3 Depth=1
	s_or_b32 exec_lo, exec_lo, s5
	s_nor_b32 s12, vcc_lo, s2
	s_delay_alu instid0(SALU_CYCLE_1)
	s_and_saveexec_b32 s5, s12
	s_cbranch_execnz .LBB15_17
.LBB15_14:                              ;   in Loop: Header=BB15_3 Depth=1
	s_or_b32 exec_lo, exec_lo, s5
	s_nor_b32 s12, vcc_lo, s3
	s_delay_alu instid0(SALU_CYCLE_1)
	s_and_saveexec_b32 s5, s12
	s_cbranch_execnz .LBB15_18
.LBB15_15:                              ;   in Loop: Header=BB15_3 Depth=1
	s_or_b32 exec_lo, exec_lo, s5
	s_nor_b32 s12, vcc_lo, s4
	s_delay_alu instid0(SALU_CYCLE_1)
	s_and_saveexec_b32 s5, s12
	s_cbranch_execz .LBB15_2
	s_branch .LBB15_19
.LBB15_16:                              ;   in Loop: Header=BB15_3 Depth=1
	ds_load_b128 v[32:35], v27
	v_add_nc_u64_e32 v[24:25], v[6:7], v[4:5]
	s_wait_dscnt 0x0
	s_wait_kmcnt 0x0
	v_mul_f64_e64 v[36:37], v[34:35], -s[18:19]
	v_mul_f64_e32 v[38:39], s[16:17], v[34:35]
	s_delay_alu instid0(VALU_DEP_2) | instskip(NEXT) | instid1(VALU_DEP_2)
	v_fmac_f64_e32 v[36:37], s[16:17], v[32:33]
	v_fmac_f64_e32 v[38:39], s[18:19], v[32:33]
	global_store_b128 v[24:25], v[36:39], off offset:-8
	s_wait_xcnt 0x0
	s_or_b32 exec_lo, exec_lo, s5
	s_nor_b32 s12, vcc_lo, s2
	s_delay_alu instid0(SALU_CYCLE_1)
	s_and_saveexec_b32 s5, s12
	s_cbranch_execz .LBB15_14
.LBB15_17:                              ;   in Loop: Header=BB15_3 Depth=1
	ds_load_b128 v[32:35], v27 offset:128
	v_add_nc_u64_e32 v[24:25], v[8:9], v[4:5]
	s_wait_dscnt 0x0
	s_wait_kmcnt 0x0
	v_mul_f64_e64 v[36:37], v[34:35], -s[18:19]
	v_mul_f64_e32 v[38:39], s[16:17], v[34:35]
	s_delay_alu instid0(VALU_DEP_2) | instskip(NEXT) | instid1(VALU_DEP_2)
	v_fmac_f64_e32 v[36:37], s[16:17], v[32:33]
	v_fmac_f64_e32 v[38:39], s[18:19], v[32:33]
	global_store_b128 v[24:25], v[36:39], off offset:-8
	s_wait_xcnt 0x0
	s_or_b32 exec_lo, exec_lo, s5
	s_nor_b32 s12, vcc_lo, s3
	s_delay_alu instid0(SALU_CYCLE_1)
	s_and_saveexec_b32 s5, s12
	s_cbranch_execz .LBB15_15
.LBB15_18:                              ;   in Loop: Header=BB15_3 Depth=1
	ds_load_b128 v[32:35], v27 offset:256
	v_add_nc_u64_e32 v[24:25], v[12:13], v[4:5]
	s_wait_dscnt 0x0
	s_wait_kmcnt 0x0
	v_mul_f64_e64 v[36:37], v[34:35], -s[18:19]
	v_mul_f64_e32 v[38:39], s[16:17], v[34:35]
	s_delay_alu instid0(VALU_DEP_2) | instskip(NEXT) | instid1(VALU_DEP_2)
	v_fmac_f64_e32 v[36:37], s[16:17], v[32:33]
	v_fmac_f64_e32 v[38:39], s[18:19], v[32:33]
	global_store_b128 v[24:25], v[36:39], off offset:-8
	s_wait_xcnt 0x0
	s_or_b32 exec_lo, exec_lo, s5
	s_nor_b32 s12, vcc_lo, s4
	s_delay_alu instid0(SALU_CYCLE_1)
	s_and_saveexec_b32 s5, s12
	s_cbranch_execz .LBB15_2
.LBB15_19:                              ;   in Loop: Header=BB15_3 Depth=1
	ds_load_b128 v[32:35], v27 offset:384
	v_add_nc_u64_e32 v[24:25], v[14:15], v[4:5]
	s_wait_dscnt 0x0
	s_wait_kmcnt 0x0
	v_mul_f64_e64 v[36:37], v[34:35], -s[18:19]
	v_mul_f64_e32 v[38:39], s[16:17], v[34:35]
	s_delay_alu instid0(VALU_DEP_2) | instskip(NEXT) | instid1(VALU_DEP_2)
	v_fmac_f64_e32 v[36:37], s[16:17], v[32:33]
	v_fmac_f64_e32 v[38:39], s[18:19], v[32:33]
	global_store_b128 v[24:25], v[36:39], off offset:-8
	s_branch .LBB15_2
.LBB15_20:
	s_endpgm
	.section	.rodata,"a",@progbits
	.p2align	6, 0x0
	.amdhsa_kernel _ZN9rocsparseL22dense_transpose_kernelILj32ELj8El21rocsparse_complex_numIdEPKS2_EEvT1_S5_T3_PKT2_lPS7_l
		.amdhsa_group_segment_fixed_size 16384
		.amdhsa_private_segment_fixed_size 0
		.amdhsa_kernarg_size 56
		.amdhsa_user_sgpr_count 2
		.amdhsa_user_sgpr_dispatch_ptr 0
		.amdhsa_user_sgpr_queue_ptr 0
		.amdhsa_user_sgpr_kernarg_segment_ptr 1
		.amdhsa_user_sgpr_dispatch_id 0
		.amdhsa_user_sgpr_kernarg_preload_length 0
		.amdhsa_user_sgpr_kernarg_preload_offset 0
		.amdhsa_user_sgpr_private_segment_size 0
		.amdhsa_wavefront_size32 1
		.amdhsa_uses_dynamic_stack 0
		.amdhsa_enable_private_segment 0
		.amdhsa_system_sgpr_workgroup_id_x 1
		.amdhsa_system_sgpr_workgroup_id_y 0
		.amdhsa_system_sgpr_workgroup_id_z 0
		.amdhsa_system_sgpr_workgroup_info 0
		.amdhsa_system_vgpr_workitem_id 0
		.amdhsa_next_free_vgpr 40
		.amdhsa_next_free_sgpr 20
		.amdhsa_named_barrier_count 0
		.amdhsa_reserve_vcc 1
		.amdhsa_float_round_mode_32 0
		.amdhsa_float_round_mode_16_64 0
		.amdhsa_float_denorm_mode_32 3
		.amdhsa_float_denorm_mode_16_64 3
		.amdhsa_fp16_overflow 0
		.amdhsa_memory_ordered 1
		.amdhsa_forward_progress 1
		.amdhsa_inst_pref_size 9
		.amdhsa_round_robin_scheduling 0
		.amdhsa_exception_fp_ieee_invalid_op 0
		.amdhsa_exception_fp_denorm_src 0
		.amdhsa_exception_fp_ieee_div_zero 0
		.amdhsa_exception_fp_ieee_overflow 0
		.amdhsa_exception_fp_ieee_underflow 0
		.amdhsa_exception_fp_ieee_inexact 0
		.amdhsa_exception_int_div_zero 0
	.end_amdhsa_kernel
	.section	.text._ZN9rocsparseL22dense_transpose_kernelILj32ELj8El21rocsparse_complex_numIdEPKS2_EEvT1_S5_T3_PKT2_lPS7_l,"axG",@progbits,_ZN9rocsparseL22dense_transpose_kernelILj32ELj8El21rocsparse_complex_numIdEPKS2_EEvT1_S5_T3_PKT2_lPS7_l,comdat
.Lfunc_end15:
	.size	_ZN9rocsparseL22dense_transpose_kernelILj32ELj8El21rocsparse_complex_numIdEPKS2_EEvT1_S5_T3_PKT2_lPS7_l, .Lfunc_end15-_ZN9rocsparseL22dense_transpose_kernelILj32ELj8El21rocsparse_complex_numIdEPKS2_EEvT1_S5_T3_PKT2_lPS7_l
                                        ; -- End function
	.set _ZN9rocsparseL22dense_transpose_kernelILj32ELj8El21rocsparse_complex_numIdEPKS2_EEvT1_S5_T3_PKT2_lPS7_l.num_vgpr, 40
	.set _ZN9rocsparseL22dense_transpose_kernelILj32ELj8El21rocsparse_complex_numIdEPKS2_EEvT1_S5_T3_PKT2_lPS7_l.num_agpr, 0
	.set _ZN9rocsparseL22dense_transpose_kernelILj32ELj8El21rocsparse_complex_numIdEPKS2_EEvT1_S5_T3_PKT2_lPS7_l.numbered_sgpr, 20
	.set _ZN9rocsparseL22dense_transpose_kernelILj32ELj8El21rocsparse_complex_numIdEPKS2_EEvT1_S5_T3_PKT2_lPS7_l.num_named_barrier, 0
	.set _ZN9rocsparseL22dense_transpose_kernelILj32ELj8El21rocsparse_complex_numIdEPKS2_EEvT1_S5_T3_PKT2_lPS7_l.private_seg_size, 0
	.set _ZN9rocsparseL22dense_transpose_kernelILj32ELj8El21rocsparse_complex_numIdEPKS2_EEvT1_S5_T3_PKT2_lPS7_l.uses_vcc, 1
	.set _ZN9rocsparseL22dense_transpose_kernelILj32ELj8El21rocsparse_complex_numIdEPKS2_EEvT1_S5_T3_PKT2_lPS7_l.uses_flat_scratch, 0
	.set _ZN9rocsparseL22dense_transpose_kernelILj32ELj8El21rocsparse_complex_numIdEPKS2_EEvT1_S5_T3_PKT2_lPS7_l.has_dyn_sized_stack, 0
	.set _ZN9rocsparseL22dense_transpose_kernelILj32ELj8El21rocsparse_complex_numIdEPKS2_EEvT1_S5_T3_PKT2_lPS7_l.has_recursion, 0
	.set _ZN9rocsparseL22dense_transpose_kernelILj32ELj8El21rocsparse_complex_numIdEPKS2_EEvT1_S5_T3_PKT2_lPS7_l.has_indirect_call, 0
	.section	.AMDGPU.csdata,"",@progbits
; Kernel info:
; codeLenInByte = 1120
; TotalNumSgprs: 22
; NumVgprs: 40
; ScratchSize: 0
; MemoryBound: 0
; FloatMode: 240
; IeeeMode: 1
; LDSByteSize: 16384 bytes/workgroup (compile time only)
; SGPRBlocks: 0
; VGPRBlocks: 2
; NumSGPRsForWavesPerEU: 22
; NumVGPRsForWavesPerEU: 40
; NamedBarCnt: 0
; Occupancy: 16
; WaveLimiterHint : 0
; COMPUTE_PGM_RSRC2:SCRATCH_EN: 0
; COMPUTE_PGM_RSRC2:USER_SGPR: 2
; COMPUTE_PGM_RSRC2:TRAP_HANDLER: 0
; COMPUTE_PGM_RSRC2:TGID_X_EN: 1
; COMPUTE_PGM_RSRC2:TGID_Y_EN: 0
; COMPUTE_PGM_RSRC2:TGID_Z_EN: 0
; COMPUTE_PGM_RSRC2:TIDIG_COMP_CNT: 0
	.section	.text._ZN9rocsparseL27dense_transpose_back_kernelILj32ELj8EifEEvT1_S1_PKT2_lPS2_l,"axG",@progbits,_ZN9rocsparseL27dense_transpose_back_kernelILj32ELj8EifEEvT1_S1_PKT2_lPS2_l,comdat
	.globl	_ZN9rocsparseL27dense_transpose_back_kernelILj32ELj8EifEEvT1_S1_PKT2_lPS2_l ; -- Begin function _ZN9rocsparseL27dense_transpose_back_kernelILj32ELj8EifEEvT1_S1_PKT2_lPS2_l
	.p2align	8
	.type	_ZN9rocsparseL27dense_transpose_back_kernelILj32ELj8EifEEvT1_S1_PKT2_lPS2_l,@function
_ZN9rocsparseL27dense_transpose_back_kernelILj32ELj8EifEEvT1_S1_PKT2_lPS2_l: ; @_ZN9rocsparseL27dense_transpose_back_kernelILj32ELj8EifEEvT1_S1_PKT2_lPS2_l
; %bb.0:
	s_load_b64 s[4:5], s[0:1], 0x0
	s_wait_kmcnt 0x0
	s_cmp_lt_i32 s5, 1
	s_cbranch_scc1 .LBB16_20
; %bb.1:
	s_load_b256 s[8:15], s[0:1], 0x8
	s_bfe_u32 s2, ttmp6, 0x4000c
	s_wait_xcnt 0x0
	s_and_b32 s0, ttmp6, 15
	s_add_co_i32 s2, s2, 1
	v_dual_mov_b32 v3, 0 :: v_dual_lshrrev_b32 v14, 5, v0
	s_mul_i32 s1, ttmp9, s2
	s_getreg_b32 s2, hwreg(HW_REG_IB_STS2, 6, 4)
	s_add_co_i32 s0, s0, s1
	s_cmp_eq_u32 s2, 0
	v_dual_lshlrev_b32 v17, 2, v14 :: v_dual_bitop2_b32 v15, 31, v0 bitop3:0x40
	s_cselect_b32 s0, ttmp9, s0
	v_mov_b32_e32 v13, v3
	s_lshl_b32 s0, s0, 5
	s_mov_b32 s6, 0
	v_dual_mov_b32 v19, v3 :: v_dual_bitop2_b32 v2, s0, v14 bitop3:0x54
	v_or_b32_e32 v0, s0, v15
	v_lshl_or_b32 v17, v15, 7, v17
	s_delay_alu instid0(VALU_DEP_3)
	v_cmp_le_u32_e32 vcc_lo, s4, v2
	v_or_b32_e32 v12, 8, v2
	v_or_b32_e32 v18, 16, v2
	s_wait_kmcnt 0x0
	v_mul_u64_e32 v[4:5], s[10:11], v[2:3]
	v_dual_ashrrev_i32 v1, 31, v0 :: v_dual_bitop2_b32 v2, 24, v2 bitop3:0x54
	v_mul_u64_e32 v[6:7], s[10:11], v[12:13]
	v_lshlrev_b32_e32 v13, 2, v15
	v_mul_u64_e32 v[8:9], s[10:11], v[18:19]
	s_delay_alu instid0(VALU_DEP_4)
	v_mul_u64_e32 v[10:11], s[10:11], v[2:3]
	v_cmp_gt_i32_e64 s0, s4, v0
	v_lshl_add_u64 v[0:1], v[0:1], 2, s[12:13]
	v_lshl_or_b32 v16, v14, 7, v13
	v_cmp_le_u32_e64 s1, s4, v12
	v_cmp_le_u32_e64 s2, s4, v18
	;; [unrolled: 1-line block ×3, first 2 shown]
	s_branch .LBB16_3
.LBB16_2:                               ;   in Loop: Header=BB16_3 Depth=1
	s_wait_xcnt 0x0
	s_or_b32 exec_lo, exec_lo, s7
	s_add_co_i32 s6, s6, 32
	s_delay_alu instid0(SALU_CYCLE_1)
	s_cmp_lt_i32 s6, s5
	s_cbranch_scc0 .LBB16_20
.LBB16_3:                               ; =>This Inner Loop Header: Depth=1
	v_add_nc_u32_e32 v12, s6, v15
	s_barrier_signal -1
	s_barrier_wait -1
	s_delay_alu instid0(VALU_DEP_1) | instskip(SKIP_1) | instid1(VALU_DEP_2)
	v_ashrrev_i32_e32 v13, 31, v12
	v_cmp_le_i32_e64 s4, s5, v12
	v_lshl_add_u64 v[12:13], v[12:13], 2, s[8:9]
	s_nor_b32 s10, s4, vcc_lo
	s_delay_alu instid0(SALU_CYCLE_1)
	s_and_saveexec_b32 s7, s10
	s_cbranch_execnz .LBB16_17
; %bb.4:                                ;   in Loop: Header=BB16_3 Depth=1
	s_or_b32 exec_lo, exec_lo, s7
	s_nor_b32 s10, s4, s1
	s_delay_alu instid0(SALU_CYCLE_1)
	s_and_saveexec_b32 s7, s10
	s_cbranch_execnz .LBB16_18
.LBB16_5:                               ;   in Loop: Header=BB16_3 Depth=1
	s_or_b32 exec_lo, exec_lo, s7
	s_nor_b32 s10, s4, s2
	s_delay_alu instid0(SALU_CYCLE_1)
	s_and_saveexec_b32 s7, s10
	s_cbranch_execnz .LBB16_19
.LBB16_6:                               ;   in Loop: Header=BB16_3 Depth=1
	s_or_b32 exec_lo, exec_lo, s7
	s_nor_b32 s7, s4, s3
	s_delay_alu instid0(SALU_CYCLE_1)
	s_and_saveexec_b32 s4, s7
	s_cbranch_execz .LBB16_8
.LBB16_7:                               ;   in Loop: Header=BB16_3 Depth=1
	v_lshl_add_u64 v[12:13], v[10:11], 2, v[12:13]
	global_load_b32 v2, v[12:13], off
	s_wait_loadcnt 0x0
	ds_store_b32 v16, v2 offset:3072
.LBB16_8:                               ;   in Loop: Header=BB16_3 Depth=1
	s_wait_xcnt 0x0
	s_or_b32 exec_lo, exec_lo, s4
	v_add_nc_u32_e32 v2, s6, v14
	s_wait_dscnt 0x0
	s_barrier_signal -1
	s_barrier_wait -1
	s_delay_alu instid0(VALU_DEP_1) | instskip(SKIP_1) | instid1(SALU_CYCLE_1)
	v_cmp_gt_u32_e64 s4, s5, v2
	s_and_b32 s7, s0, s4
	s_and_saveexec_b32 s4, s7
	s_cbranch_execz .LBB16_10
; %bb.9:                                ;   in Loop: Header=BB16_3 Depth=1
	v_mul_u64_e32 v[12:13], s[14:15], v[2:3]
	ds_load_b32 v18, v17
	v_lshl_add_u64 v[12:13], v[12:13], 2, v[0:1]
	s_wait_dscnt 0x0
	global_store_b32 v[12:13], v18, off
.LBB16_10:                              ;   in Loop: Header=BB16_3 Depth=1
	s_wait_xcnt 0x0
	s_or_b32 exec_lo, exec_lo, s4
	s_and_saveexec_b32 s7, s0
	s_cbranch_execz .LBB16_2
; %bb.11:                               ;   in Loop: Header=BB16_3 Depth=1
	v_add_nc_u32_e32 v12, 8, v2
	s_mov_b32 s10, exec_lo
	s_delay_alu instid0(VALU_DEP_1)
	v_cmpx_gt_u32_e64 s5, v12
	s_cbranch_execz .LBB16_13
; %bb.12:                               ;   in Loop: Header=BB16_3 Depth=1
	v_mov_b32_e32 v13, v3
	ds_load_b32 v18, v17 offset:32
	v_mul_u64_e32 v[12:13], s[14:15], v[12:13]
	s_delay_alu instid0(VALU_DEP_1)
	v_lshl_add_u64 v[12:13], v[12:13], 2, v[0:1]
	s_wait_dscnt 0x0
	global_store_b32 v[12:13], v18, off
.LBB16_13:                              ;   in Loop: Header=BB16_3 Depth=1
	s_wait_xcnt 0x0
	s_or_b32 exec_lo, exec_lo, s10
	v_add_nc_u32_e32 v12, 16, v2
	s_mov_b32 s10, exec_lo
	s_delay_alu instid0(VALU_DEP_1)
	v_cmpx_gt_u32_e64 s5, v12
	s_cbranch_execz .LBB16_15
; %bb.14:                               ;   in Loop: Header=BB16_3 Depth=1
	v_mov_b32_e32 v13, v3
	ds_load_b32 v18, v17 offset:64
	v_mul_u64_e32 v[12:13], s[14:15], v[12:13]
	s_delay_alu instid0(VALU_DEP_1)
	v_lshl_add_u64 v[12:13], v[12:13], 2, v[0:1]
	s_wait_dscnt 0x0
	global_store_b32 v[12:13], v18, off
.LBB16_15:                              ;   in Loop: Header=BB16_3 Depth=1
	s_wait_xcnt 0x0
	s_or_b32 exec_lo, exec_lo, s10
	v_add_nc_u32_e32 v2, 24, v2
	s_delay_alu instid0(VALU_DEP_1)
	v_cmp_gt_u32_e64 s4, s5, v2
	s_and_b32 exec_lo, exec_lo, s4
	s_cbranch_execz .LBB16_2
; %bb.16:                               ;   in Loop: Header=BB16_3 Depth=1
	v_mul_u64_e32 v[12:13], s[14:15], v[2:3]
	ds_load_b32 v2, v17 offset:96
	v_lshl_add_u64 v[12:13], v[12:13], 2, v[0:1]
	s_wait_dscnt 0x0
	global_store_b32 v[12:13], v2, off
	s_branch .LBB16_2
.LBB16_17:                              ;   in Loop: Header=BB16_3 Depth=1
	s_delay_alu instid0(VALU_DEP_1)
	v_lshl_add_u64 v[18:19], v[4:5], 2, v[12:13]
	global_load_b32 v2, v[18:19], off
	s_wait_loadcnt 0x0
	ds_store_b32 v16, v2
	s_wait_xcnt 0x0
	s_or_b32 exec_lo, exec_lo, s7
	s_nor_b32 s10, s4, s1
	s_delay_alu instid0(SALU_CYCLE_1)
	s_and_saveexec_b32 s7, s10
	s_cbranch_execz .LBB16_5
.LBB16_18:                              ;   in Loop: Header=BB16_3 Depth=1
	v_lshl_add_u64 v[18:19], v[6:7], 2, v[12:13]
	global_load_b32 v2, v[18:19], off
	s_wait_loadcnt 0x0
	ds_store_b32 v16, v2 offset:1024
	s_wait_xcnt 0x0
	s_or_b32 exec_lo, exec_lo, s7
	s_nor_b32 s10, s4, s2
	s_delay_alu instid0(SALU_CYCLE_1)
	s_and_saveexec_b32 s7, s10
	s_cbranch_execz .LBB16_6
.LBB16_19:                              ;   in Loop: Header=BB16_3 Depth=1
	v_lshl_add_u64 v[18:19], v[8:9], 2, v[12:13]
	global_load_b32 v2, v[18:19], off
	s_wait_loadcnt 0x0
	ds_store_b32 v16, v2 offset:2048
	s_wait_xcnt 0x0
	s_or_b32 exec_lo, exec_lo, s7
	s_nor_b32 s7, s4, s3
	s_delay_alu instid0(SALU_CYCLE_1)
	s_and_saveexec_b32 s4, s7
	s_cbranch_execnz .LBB16_7
	s_branch .LBB16_8
.LBB16_20:
	s_endpgm
	.section	.rodata,"a",@progbits
	.p2align	6, 0x0
	.amdhsa_kernel _ZN9rocsparseL27dense_transpose_back_kernelILj32ELj8EifEEvT1_S1_PKT2_lPS2_l
		.amdhsa_group_segment_fixed_size 4096
		.amdhsa_private_segment_fixed_size 0
		.amdhsa_kernarg_size 40
		.amdhsa_user_sgpr_count 2
		.amdhsa_user_sgpr_dispatch_ptr 0
		.amdhsa_user_sgpr_queue_ptr 0
		.amdhsa_user_sgpr_kernarg_segment_ptr 1
		.amdhsa_user_sgpr_dispatch_id 0
		.amdhsa_user_sgpr_kernarg_preload_length 0
		.amdhsa_user_sgpr_kernarg_preload_offset 0
		.amdhsa_user_sgpr_private_segment_size 0
		.amdhsa_wavefront_size32 1
		.amdhsa_uses_dynamic_stack 0
		.amdhsa_enable_private_segment 0
		.amdhsa_system_sgpr_workgroup_id_x 1
		.amdhsa_system_sgpr_workgroup_id_y 0
		.amdhsa_system_sgpr_workgroup_id_z 0
		.amdhsa_system_sgpr_workgroup_info 0
		.amdhsa_system_vgpr_workitem_id 0
		.amdhsa_next_free_vgpr 20
		.amdhsa_next_free_sgpr 16
		.amdhsa_named_barrier_count 0
		.amdhsa_reserve_vcc 1
		.amdhsa_float_round_mode_32 0
		.amdhsa_float_round_mode_16_64 0
		.amdhsa_float_denorm_mode_32 3
		.amdhsa_float_denorm_mode_16_64 3
		.amdhsa_fp16_overflow 0
		.amdhsa_memory_ordered 1
		.amdhsa_forward_progress 1
		.amdhsa_inst_pref_size 7
		.amdhsa_round_robin_scheduling 0
		.amdhsa_exception_fp_ieee_invalid_op 0
		.amdhsa_exception_fp_denorm_src 0
		.amdhsa_exception_fp_ieee_div_zero 0
		.amdhsa_exception_fp_ieee_overflow 0
		.amdhsa_exception_fp_ieee_underflow 0
		.amdhsa_exception_fp_ieee_inexact 0
		.amdhsa_exception_int_div_zero 0
	.end_amdhsa_kernel
	.section	.text._ZN9rocsparseL27dense_transpose_back_kernelILj32ELj8EifEEvT1_S1_PKT2_lPS2_l,"axG",@progbits,_ZN9rocsparseL27dense_transpose_back_kernelILj32ELj8EifEEvT1_S1_PKT2_lPS2_l,comdat
.Lfunc_end16:
	.size	_ZN9rocsparseL27dense_transpose_back_kernelILj32ELj8EifEEvT1_S1_PKT2_lPS2_l, .Lfunc_end16-_ZN9rocsparseL27dense_transpose_back_kernelILj32ELj8EifEEvT1_S1_PKT2_lPS2_l
                                        ; -- End function
	.set _ZN9rocsparseL27dense_transpose_back_kernelILj32ELj8EifEEvT1_S1_PKT2_lPS2_l.num_vgpr, 20
	.set _ZN9rocsparseL27dense_transpose_back_kernelILj32ELj8EifEEvT1_S1_PKT2_lPS2_l.num_agpr, 0
	.set _ZN9rocsparseL27dense_transpose_back_kernelILj32ELj8EifEEvT1_S1_PKT2_lPS2_l.numbered_sgpr, 16
	.set _ZN9rocsparseL27dense_transpose_back_kernelILj32ELj8EifEEvT1_S1_PKT2_lPS2_l.num_named_barrier, 0
	.set _ZN9rocsparseL27dense_transpose_back_kernelILj32ELj8EifEEvT1_S1_PKT2_lPS2_l.private_seg_size, 0
	.set _ZN9rocsparseL27dense_transpose_back_kernelILj32ELj8EifEEvT1_S1_PKT2_lPS2_l.uses_vcc, 1
	.set _ZN9rocsparseL27dense_transpose_back_kernelILj32ELj8EifEEvT1_S1_PKT2_lPS2_l.uses_flat_scratch, 0
	.set _ZN9rocsparseL27dense_transpose_back_kernelILj32ELj8EifEEvT1_S1_PKT2_lPS2_l.has_dyn_sized_stack, 0
	.set _ZN9rocsparseL27dense_transpose_back_kernelILj32ELj8EifEEvT1_S1_PKT2_lPS2_l.has_recursion, 0
	.set _ZN9rocsparseL27dense_transpose_back_kernelILj32ELj8EifEEvT1_S1_PKT2_lPS2_l.has_indirect_call, 0
	.section	.AMDGPU.csdata,"",@progbits
; Kernel info:
; codeLenInByte = 896
; TotalNumSgprs: 18
; NumVgprs: 20
; ScratchSize: 0
; MemoryBound: 0
; FloatMode: 240
; IeeeMode: 1
; LDSByteSize: 4096 bytes/workgroup (compile time only)
; SGPRBlocks: 0
; VGPRBlocks: 1
; NumSGPRsForWavesPerEU: 18
; NumVGPRsForWavesPerEU: 20
; NamedBarCnt: 0
; Occupancy: 16
; WaveLimiterHint : 0
; COMPUTE_PGM_RSRC2:SCRATCH_EN: 0
; COMPUTE_PGM_RSRC2:USER_SGPR: 2
; COMPUTE_PGM_RSRC2:TRAP_HANDLER: 0
; COMPUTE_PGM_RSRC2:TGID_X_EN: 1
; COMPUTE_PGM_RSRC2:TGID_Y_EN: 0
; COMPUTE_PGM_RSRC2:TGID_Z_EN: 0
; COMPUTE_PGM_RSRC2:TIDIG_COMP_CNT: 0
	.section	.text._ZN9rocsparseL27dense_transpose_back_kernelILj32ELj8EidEEvT1_S1_PKT2_lPS2_l,"axG",@progbits,_ZN9rocsparseL27dense_transpose_back_kernelILj32ELj8EidEEvT1_S1_PKT2_lPS2_l,comdat
	.globl	_ZN9rocsparseL27dense_transpose_back_kernelILj32ELj8EidEEvT1_S1_PKT2_lPS2_l ; -- Begin function _ZN9rocsparseL27dense_transpose_back_kernelILj32ELj8EidEEvT1_S1_PKT2_lPS2_l
	.p2align	8
	.type	_ZN9rocsparseL27dense_transpose_back_kernelILj32ELj8EidEEvT1_S1_PKT2_lPS2_l,@function
_ZN9rocsparseL27dense_transpose_back_kernelILj32ELj8EidEEvT1_S1_PKT2_lPS2_l: ; @_ZN9rocsparseL27dense_transpose_back_kernelILj32ELj8EidEEvT1_S1_PKT2_lPS2_l
; %bb.0:
	s_load_b64 s[4:5], s[0:1], 0x0
	s_wait_kmcnt 0x0
	s_cmp_lt_i32 s5, 1
	s_cbranch_scc1 .LBB17_20
; %bb.1:
	s_load_b256 s[8:15], s[0:1], 0x8
	s_bfe_u32 s2, ttmp6, 0x4000c
	s_wait_xcnt 0x0
	s_and_b32 s0, ttmp6, 15
	s_add_co_i32 s2, s2, 1
	v_dual_mov_b32 v3, 0 :: v_dual_lshrrev_b32 v14, 5, v0
	s_mul_i32 s1, ttmp9, s2
	s_getreg_b32 s2, hwreg(HW_REG_IB_STS2, 6, 4)
	s_add_co_i32 s0, s0, s1
	s_cmp_eq_u32 s2, 0
	v_dual_lshlrev_b32 v17, 3, v14 :: v_dual_bitop2_b32 v15, 31, v0 bitop3:0x40
	s_cselect_b32 s0, ttmp9, s0
	v_mov_b32_e32 v13, v3
	s_lshl_b32 s0, s0, 5
	s_mov_b32 s6, 0
	v_dual_mov_b32 v19, v3 :: v_dual_bitop2_b32 v2, s0, v14 bitop3:0x54
	v_or_b32_e32 v0, s0, v15
	v_lshl_or_b32 v17, v15, 8, v17
	s_delay_alu instid0(VALU_DEP_3)
	v_cmp_le_u32_e32 vcc_lo, s4, v2
	v_or_b32_e32 v12, 8, v2
	v_or_b32_e32 v18, 16, v2
	s_wait_kmcnt 0x0
	v_mul_u64_e32 v[4:5], s[10:11], v[2:3]
	v_dual_ashrrev_i32 v1, 31, v0 :: v_dual_bitop2_b32 v2, 24, v2 bitop3:0x54
	v_mul_u64_e32 v[6:7], s[10:11], v[12:13]
	v_lshlrev_b32_e32 v13, 3, v15
	v_mul_u64_e32 v[8:9], s[10:11], v[18:19]
	s_delay_alu instid0(VALU_DEP_4)
	v_mul_u64_e32 v[10:11], s[10:11], v[2:3]
	v_cmp_gt_i32_e64 s0, s4, v0
	v_lshl_add_u64 v[0:1], v[0:1], 3, s[12:13]
	v_lshl_or_b32 v16, v14, 8, v13
	v_cmp_le_u32_e64 s1, s4, v12
	v_cmp_le_u32_e64 s2, s4, v18
	;; [unrolled: 1-line block ×3, first 2 shown]
	s_branch .LBB17_3
.LBB17_2:                               ;   in Loop: Header=BB17_3 Depth=1
	s_wait_xcnt 0x0
	s_or_b32 exec_lo, exec_lo, s7
	s_add_co_i32 s6, s6, 32
	s_delay_alu instid0(SALU_CYCLE_1)
	s_cmp_lt_i32 s6, s5
	s_cbranch_scc0 .LBB17_20
.LBB17_3:                               ; =>This Inner Loop Header: Depth=1
	v_add_nc_u32_e32 v12, s6, v15
	s_barrier_signal -1
	s_barrier_wait -1
	s_delay_alu instid0(VALU_DEP_1) | instskip(SKIP_1) | instid1(VALU_DEP_2)
	v_ashrrev_i32_e32 v13, 31, v12
	v_cmp_le_i32_e64 s4, s5, v12
	v_lshl_add_u64 v[12:13], v[12:13], 3, s[8:9]
	s_nor_b32 s10, s4, vcc_lo
	s_delay_alu instid0(SALU_CYCLE_1)
	s_and_saveexec_b32 s7, s10
	s_cbranch_execnz .LBB17_17
; %bb.4:                                ;   in Loop: Header=BB17_3 Depth=1
	s_or_b32 exec_lo, exec_lo, s7
	s_nor_b32 s10, s4, s1
	s_delay_alu instid0(SALU_CYCLE_1)
	s_and_saveexec_b32 s7, s10
	s_cbranch_execnz .LBB17_18
.LBB17_5:                               ;   in Loop: Header=BB17_3 Depth=1
	s_or_b32 exec_lo, exec_lo, s7
	s_nor_b32 s10, s4, s2
	s_delay_alu instid0(SALU_CYCLE_1)
	s_and_saveexec_b32 s7, s10
	s_cbranch_execnz .LBB17_19
.LBB17_6:                               ;   in Loop: Header=BB17_3 Depth=1
	s_or_b32 exec_lo, exec_lo, s7
	s_nor_b32 s7, s4, s3
	s_delay_alu instid0(SALU_CYCLE_1)
	s_and_saveexec_b32 s4, s7
	s_cbranch_execz .LBB17_8
.LBB17_7:                               ;   in Loop: Header=BB17_3 Depth=1
	v_lshl_add_u64 v[12:13], v[10:11], 3, v[12:13]
	global_load_b64 v[12:13], v[12:13], off
	s_wait_loadcnt 0x0
	ds_store_b64 v16, v[12:13] offset:6144
.LBB17_8:                               ;   in Loop: Header=BB17_3 Depth=1
	s_wait_xcnt 0x0
	s_or_b32 exec_lo, exec_lo, s4
	v_add_nc_u32_e32 v2, s6, v14
	s_wait_dscnt 0x0
	s_barrier_signal -1
	s_barrier_wait -1
	s_delay_alu instid0(VALU_DEP_1) | instskip(SKIP_1) | instid1(SALU_CYCLE_1)
	v_cmp_gt_u32_e64 s4, s5, v2
	s_and_b32 s7, s0, s4
	s_and_saveexec_b32 s4, s7
	s_cbranch_execz .LBB17_10
; %bb.9:                                ;   in Loop: Header=BB17_3 Depth=1
	v_mul_u64_e32 v[12:13], s[14:15], v[2:3]
	ds_load_b64 v[18:19], v17
	v_lshl_add_u64 v[12:13], v[12:13], 3, v[0:1]
	s_wait_dscnt 0x0
	global_store_b64 v[12:13], v[18:19], off
.LBB17_10:                              ;   in Loop: Header=BB17_3 Depth=1
	s_wait_xcnt 0x0
	s_or_b32 exec_lo, exec_lo, s4
	s_and_saveexec_b32 s7, s0
	s_cbranch_execz .LBB17_2
; %bb.11:                               ;   in Loop: Header=BB17_3 Depth=1
	v_add_nc_u32_e32 v12, 8, v2
	s_mov_b32 s10, exec_lo
	s_delay_alu instid0(VALU_DEP_1)
	v_cmpx_gt_u32_e64 s5, v12
	s_cbranch_execz .LBB17_13
; %bb.12:                               ;   in Loop: Header=BB17_3 Depth=1
	v_mov_b32_e32 v13, v3
	ds_load_b64 v[18:19], v17 offset:64
	v_mul_u64_e32 v[12:13], s[14:15], v[12:13]
	s_delay_alu instid0(VALU_DEP_1)
	v_lshl_add_u64 v[12:13], v[12:13], 3, v[0:1]
	s_wait_dscnt 0x0
	global_store_b64 v[12:13], v[18:19], off
.LBB17_13:                              ;   in Loop: Header=BB17_3 Depth=1
	s_wait_xcnt 0x0
	s_or_b32 exec_lo, exec_lo, s10
	v_add_nc_u32_e32 v12, 16, v2
	s_mov_b32 s10, exec_lo
	s_delay_alu instid0(VALU_DEP_1)
	v_cmpx_gt_u32_e64 s5, v12
	s_cbranch_execz .LBB17_15
; %bb.14:                               ;   in Loop: Header=BB17_3 Depth=1
	v_mov_b32_e32 v13, v3
	ds_load_b64 v[18:19], v17 offset:128
	v_mul_u64_e32 v[12:13], s[14:15], v[12:13]
	s_delay_alu instid0(VALU_DEP_1)
	v_lshl_add_u64 v[12:13], v[12:13], 3, v[0:1]
	s_wait_dscnt 0x0
	global_store_b64 v[12:13], v[18:19], off
.LBB17_15:                              ;   in Loop: Header=BB17_3 Depth=1
	s_wait_xcnt 0x0
	s_or_b32 exec_lo, exec_lo, s10
	v_add_nc_u32_e32 v2, 24, v2
	s_delay_alu instid0(VALU_DEP_1)
	v_cmp_gt_u32_e64 s4, s5, v2
	s_and_b32 exec_lo, exec_lo, s4
	s_cbranch_execz .LBB17_2
; %bb.16:                               ;   in Loop: Header=BB17_3 Depth=1
	v_mul_u64_e32 v[12:13], s[14:15], v[2:3]
	ds_load_b64 v[18:19], v17 offset:192
	v_lshl_add_u64 v[12:13], v[12:13], 3, v[0:1]
	s_wait_dscnt 0x0
	global_store_b64 v[12:13], v[18:19], off
	s_branch .LBB17_2
.LBB17_17:                              ;   in Loop: Header=BB17_3 Depth=1
	s_delay_alu instid0(VALU_DEP_1)
	v_lshl_add_u64 v[18:19], v[4:5], 3, v[12:13]
	global_load_b64 v[18:19], v[18:19], off
	s_wait_loadcnt 0x0
	ds_store_b64 v16, v[18:19]
	s_wait_xcnt 0x0
	s_or_b32 exec_lo, exec_lo, s7
	s_nor_b32 s10, s4, s1
	s_delay_alu instid0(SALU_CYCLE_1)
	s_and_saveexec_b32 s7, s10
	s_cbranch_execz .LBB17_5
.LBB17_18:                              ;   in Loop: Header=BB17_3 Depth=1
	v_lshl_add_u64 v[18:19], v[6:7], 3, v[12:13]
	global_load_b64 v[18:19], v[18:19], off
	s_wait_loadcnt 0x0
	ds_store_b64 v16, v[18:19] offset:2048
	s_wait_xcnt 0x0
	s_or_b32 exec_lo, exec_lo, s7
	s_nor_b32 s10, s4, s2
	s_delay_alu instid0(SALU_CYCLE_1)
	s_and_saveexec_b32 s7, s10
	s_cbranch_execz .LBB17_6
.LBB17_19:                              ;   in Loop: Header=BB17_3 Depth=1
	v_lshl_add_u64 v[18:19], v[8:9], 3, v[12:13]
	global_load_b64 v[18:19], v[18:19], off
	s_wait_loadcnt 0x0
	ds_store_b64 v16, v[18:19] offset:4096
	s_wait_xcnt 0x0
	s_or_b32 exec_lo, exec_lo, s7
	s_nor_b32 s7, s4, s3
	s_delay_alu instid0(SALU_CYCLE_1)
	s_and_saveexec_b32 s4, s7
	s_cbranch_execnz .LBB17_7
	s_branch .LBB17_8
.LBB17_20:
	s_endpgm
	.section	.rodata,"a",@progbits
	.p2align	6, 0x0
	.amdhsa_kernel _ZN9rocsparseL27dense_transpose_back_kernelILj32ELj8EidEEvT1_S1_PKT2_lPS2_l
		.amdhsa_group_segment_fixed_size 8192
		.amdhsa_private_segment_fixed_size 0
		.amdhsa_kernarg_size 40
		.amdhsa_user_sgpr_count 2
		.amdhsa_user_sgpr_dispatch_ptr 0
		.amdhsa_user_sgpr_queue_ptr 0
		.amdhsa_user_sgpr_kernarg_segment_ptr 1
		.amdhsa_user_sgpr_dispatch_id 0
		.amdhsa_user_sgpr_kernarg_preload_length 0
		.amdhsa_user_sgpr_kernarg_preload_offset 0
		.amdhsa_user_sgpr_private_segment_size 0
		.amdhsa_wavefront_size32 1
		.amdhsa_uses_dynamic_stack 0
		.amdhsa_enable_private_segment 0
		.amdhsa_system_sgpr_workgroup_id_x 1
		.amdhsa_system_sgpr_workgroup_id_y 0
		.amdhsa_system_sgpr_workgroup_id_z 0
		.amdhsa_system_sgpr_workgroup_info 0
		.amdhsa_system_vgpr_workitem_id 0
		.amdhsa_next_free_vgpr 20
		.amdhsa_next_free_sgpr 16
		.amdhsa_named_barrier_count 0
		.amdhsa_reserve_vcc 1
		.amdhsa_float_round_mode_32 0
		.amdhsa_float_round_mode_16_64 0
		.amdhsa_float_denorm_mode_32 3
		.amdhsa_float_denorm_mode_16_64 3
		.amdhsa_fp16_overflow 0
		.amdhsa_memory_ordered 1
		.amdhsa_forward_progress 1
		.amdhsa_inst_pref_size 7
		.amdhsa_round_robin_scheduling 0
		.amdhsa_exception_fp_ieee_invalid_op 0
		.amdhsa_exception_fp_denorm_src 0
		.amdhsa_exception_fp_ieee_div_zero 0
		.amdhsa_exception_fp_ieee_overflow 0
		.amdhsa_exception_fp_ieee_underflow 0
		.amdhsa_exception_fp_ieee_inexact 0
		.amdhsa_exception_int_div_zero 0
	.end_amdhsa_kernel
	.section	.text._ZN9rocsparseL27dense_transpose_back_kernelILj32ELj8EidEEvT1_S1_PKT2_lPS2_l,"axG",@progbits,_ZN9rocsparseL27dense_transpose_back_kernelILj32ELj8EidEEvT1_S1_PKT2_lPS2_l,comdat
.Lfunc_end17:
	.size	_ZN9rocsparseL27dense_transpose_back_kernelILj32ELj8EidEEvT1_S1_PKT2_lPS2_l, .Lfunc_end17-_ZN9rocsparseL27dense_transpose_back_kernelILj32ELj8EidEEvT1_S1_PKT2_lPS2_l
                                        ; -- End function
	.set _ZN9rocsparseL27dense_transpose_back_kernelILj32ELj8EidEEvT1_S1_PKT2_lPS2_l.num_vgpr, 20
	.set _ZN9rocsparseL27dense_transpose_back_kernelILj32ELj8EidEEvT1_S1_PKT2_lPS2_l.num_agpr, 0
	.set _ZN9rocsparseL27dense_transpose_back_kernelILj32ELj8EidEEvT1_S1_PKT2_lPS2_l.numbered_sgpr, 16
	.set _ZN9rocsparseL27dense_transpose_back_kernelILj32ELj8EidEEvT1_S1_PKT2_lPS2_l.num_named_barrier, 0
	.set _ZN9rocsparseL27dense_transpose_back_kernelILj32ELj8EidEEvT1_S1_PKT2_lPS2_l.private_seg_size, 0
	.set _ZN9rocsparseL27dense_transpose_back_kernelILj32ELj8EidEEvT1_S1_PKT2_lPS2_l.uses_vcc, 1
	.set _ZN9rocsparseL27dense_transpose_back_kernelILj32ELj8EidEEvT1_S1_PKT2_lPS2_l.uses_flat_scratch, 0
	.set _ZN9rocsparseL27dense_transpose_back_kernelILj32ELj8EidEEvT1_S1_PKT2_lPS2_l.has_dyn_sized_stack, 0
	.set _ZN9rocsparseL27dense_transpose_back_kernelILj32ELj8EidEEvT1_S1_PKT2_lPS2_l.has_recursion, 0
	.set _ZN9rocsparseL27dense_transpose_back_kernelILj32ELj8EidEEvT1_S1_PKT2_lPS2_l.has_indirect_call, 0
	.section	.AMDGPU.csdata,"",@progbits
; Kernel info:
; codeLenInByte = 896
; TotalNumSgprs: 18
; NumVgprs: 20
; ScratchSize: 0
; MemoryBound: 0
; FloatMode: 240
; IeeeMode: 1
; LDSByteSize: 8192 bytes/workgroup (compile time only)
; SGPRBlocks: 0
; VGPRBlocks: 1
; NumSGPRsForWavesPerEU: 18
; NumVGPRsForWavesPerEU: 20
; NamedBarCnt: 0
; Occupancy: 16
; WaveLimiterHint : 0
; COMPUTE_PGM_RSRC2:SCRATCH_EN: 0
; COMPUTE_PGM_RSRC2:USER_SGPR: 2
; COMPUTE_PGM_RSRC2:TRAP_HANDLER: 0
; COMPUTE_PGM_RSRC2:TGID_X_EN: 1
; COMPUTE_PGM_RSRC2:TGID_Y_EN: 0
; COMPUTE_PGM_RSRC2:TGID_Z_EN: 0
; COMPUTE_PGM_RSRC2:TIDIG_COMP_CNT: 0
	.section	.text._ZN9rocsparseL27dense_transpose_back_kernelILj32ELj8Ei21rocsparse_complex_numIfEEEvT1_S3_PKT2_lPS4_l,"axG",@progbits,_ZN9rocsparseL27dense_transpose_back_kernelILj32ELj8Ei21rocsparse_complex_numIfEEEvT1_S3_PKT2_lPS4_l,comdat
	.globl	_ZN9rocsparseL27dense_transpose_back_kernelILj32ELj8Ei21rocsparse_complex_numIfEEEvT1_S3_PKT2_lPS4_l ; -- Begin function _ZN9rocsparseL27dense_transpose_back_kernelILj32ELj8Ei21rocsparse_complex_numIfEEEvT1_S3_PKT2_lPS4_l
	.p2align	8
	.type	_ZN9rocsparseL27dense_transpose_back_kernelILj32ELj8Ei21rocsparse_complex_numIfEEEvT1_S3_PKT2_lPS4_l,@function
_ZN9rocsparseL27dense_transpose_back_kernelILj32ELj8Ei21rocsparse_complex_numIfEEEvT1_S3_PKT2_lPS4_l: ; @_ZN9rocsparseL27dense_transpose_back_kernelILj32ELj8Ei21rocsparse_complex_numIfEEEvT1_S3_PKT2_lPS4_l
; %bb.0:
	s_load_b64 s[4:5], s[0:1], 0x0
	s_wait_kmcnt 0x0
	s_cmp_lt_i32 s5, 1
	s_cbranch_scc1 .LBB18_20
; %bb.1:
	s_load_b256 s[8:15], s[0:1], 0x8
	s_bfe_u32 s2, ttmp6, 0x4000c
	s_wait_xcnt 0x0
	s_and_b32 s0, ttmp6, 15
	s_add_co_i32 s2, s2, 1
	v_dual_mov_b32 v3, 0 :: v_dual_lshrrev_b32 v14, 5, v0
	s_mul_i32 s1, ttmp9, s2
	s_getreg_b32 s2, hwreg(HW_REG_IB_STS2, 6, 4)
	s_add_co_i32 s0, s0, s1
	s_cmp_eq_u32 s2, 0
	v_dual_lshlrev_b32 v17, 3, v14 :: v_dual_bitop2_b32 v15, 31, v0 bitop3:0x40
	s_cselect_b32 s0, ttmp9, s0
	v_mov_b32_e32 v13, v3
	s_lshl_b32 s0, s0, 5
	s_mov_b32 s6, 0
	v_dual_mov_b32 v19, v3 :: v_dual_bitop2_b32 v2, s0, v14 bitop3:0x54
	v_or_b32_e32 v0, s0, v15
	v_lshl_or_b32 v17, v15, 8, v17
	s_delay_alu instid0(VALU_DEP_3)
	v_cmp_le_u32_e32 vcc_lo, s4, v2
	v_or_b32_e32 v12, 8, v2
	v_or_b32_e32 v18, 16, v2
	s_wait_kmcnt 0x0
	v_mul_u64_e32 v[4:5], s[10:11], v[2:3]
	v_dual_ashrrev_i32 v1, 31, v0 :: v_dual_bitop2_b32 v2, 24, v2 bitop3:0x54
	v_mul_u64_e32 v[6:7], s[10:11], v[12:13]
	v_lshlrev_b32_e32 v13, 3, v15
	v_mul_u64_e32 v[8:9], s[10:11], v[18:19]
	s_delay_alu instid0(VALU_DEP_4)
	v_mul_u64_e32 v[10:11], s[10:11], v[2:3]
	v_cmp_gt_i32_e64 s0, s4, v0
	v_lshl_add_u64 v[0:1], v[0:1], 3, s[12:13]
	v_lshl_or_b32 v16, v14, 8, v13
	v_cmp_le_u32_e64 s1, s4, v12
	v_cmp_le_u32_e64 s2, s4, v18
	;; [unrolled: 1-line block ×3, first 2 shown]
	s_branch .LBB18_3
.LBB18_2:                               ;   in Loop: Header=BB18_3 Depth=1
	s_wait_xcnt 0x0
	s_or_b32 exec_lo, exec_lo, s7
	s_add_co_i32 s6, s6, 32
	s_delay_alu instid0(SALU_CYCLE_1)
	s_cmp_lt_i32 s6, s5
	s_cbranch_scc0 .LBB18_20
.LBB18_3:                               ; =>This Inner Loop Header: Depth=1
	v_add_nc_u32_e32 v12, s6, v15
	s_barrier_signal -1
	s_barrier_wait -1
	s_delay_alu instid0(VALU_DEP_1) | instskip(SKIP_1) | instid1(VALU_DEP_2)
	v_ashrrev_i32_e32 v13, 31, v12
	v_cmp_le_i32_e64 s4, s5, v12
	v_lshl_add_u64 v[12:13], v[12:13], 3, s[8:9]
	s_nor_b32 s10, s4, vcc_lo
	s_delay_alu instid0(SALU_CYCLE_1)
	s_and_saveexec_b32 s7, s10
	s_cbranch_execnz .LBB18_17
; %bb.4:                                ;   in Loop: Header=BB18_3 Depth=1
	s_or_b32 exec_lo, exec_lo, s7
	s_nor_b32 s10, s4, s1
	s_delay_alu instid0(SALU_CYCLE_1)
	s_and_saveexec_b32 s7, s10
	s_cbranch_execnz .LBB18_18
.LBB18_5:                               ;   in Loop: Header=BB18_3 Depth=1
	s_or_b32 exec_lo, exec_lo, s7
	s_nor_b32 s10, s4, s2
	s_delay_alu instid0(SALU_CYCLE_1)
	s_and_saveexec_b32 s7, s10
	s_cbranch_execnz .LBB18_19
.LBB18_6:                               ;   in Loop: Header=BB18_3 Depth=1
	s_or_b32 exec_lo, exec_lo, s7
	s_nor_b32 s7, s4, s3
	s_delay_alu instid0(SALU_CYCLE_1)
	s_and_saveexec_b32 s4, s7
	s_cbranch_execz .LBB18_8
.LBB18_7:                               ;   in Loop: Header=BB18_3 Depth=1
	v_lshl_add_u64 v[12:13], v[10:11], 3, v[12:13]
	global_load_b64 v[12:13], v[12:13], off
	s_wait_loadcnt 0x0
	ds_store_b64 v16, v[12:13] offset:6144
.LBB18_8:                               ;   in Loop: Header=BB18_3 Depth=1
	s_wait_xcnt 0x0
	s_or_b32 exec_lo, exec_lo, s4
	v_add_nc_u32_e32 v2, s6, v14
	s_wait_dscnt 0x0
	s_barrier_signal -1
	s_barrier_wait -1
	s_delay_alu instid0(VALU_DEP_1) | instskip(SKIP_1) | instid1(SALU_CYCLE_1)
	v_cmp_gt_u32_e64 s4, s5, v2
	s_and_b32 s7, s0, s4
	s_and_saveexec_b32 s4, s7
	s_cbranch_execz .LBB18_10
; %bb.9:                                ;   in Loop: Header=BB18_3 Depth=1
	v_mul_u64_e32 v[12:13], s[14:15], v[2:3]
	ds_load_b64 v[18:19], v17
	v_lshl_add_u64 v[12:13], v[12:13], 3, v[0:1]
	s_wait_dscnt 0x0
	global_store_b64 v[12:13], v[18:19], off
.LBB18_10:                              ;   in Loop: Header=BB18_3 Depth=1
	s_wait_xcnt 0x0
	s_or_b32 exec_lo, exec_lo, s4
	s_and_saveexec_b32 s7, s0
	s_cbranch_execz .LBB18_2
; %bb.11:                               ;   in Loop: Header=BB18_3 Depth=1
	v_add_nc_u32_e32 v12, 8, v2
	s_mov_b32 s10, exec_lo
	s_delay_alu instid0(VALU_DEP_1)
	v_cmpx_gt_u32_e64 s5, v12
	s_cbranch_execz .LBB18_13
; %bb.12:                               ;   in Loop: Header=BB18_3 Depth=1
	v_mov_b32_e32 v13, v3
	ds_load_b64 v[18:19], v17 offset:64
	v_mul_u64_e32 v[12:13], s[14:15], v[12:13]
	s_delay_alu instid0(VALU_DEP_1)
	v_lshl_add_u64 v[12:13], v[12:13], 3, v[0:1]
	s_wait_dscnt 0x0
	global_store_b64 v[12:13], v[18:19], off
.LBB18_13:                              ;   in Loop: Header=BB18_3 Depth=1
	s_wait_xcnt 0x0
	s_or_b32 exec_lo, exec_lo, s10
	v_add_nc_u32_e32 v12, 16, v2
	s_mov_b32 s10, exec_lo
	s_delay_alu instid0(VALU_DEP_1)
	v_cmpx_gt_u32_e64 s5, v12
	s_cbranch_execz .LBB18_15
; %bb.14:                               ;   in Loop: Header=BB18_3 Depth=1
	v_mov_b32_e32 v13, v3
	ds_load_b64 v[18:19], v17 offset:128
	v_mul_u64_e32 v[12:13], s[14:15], v[12:13]
	s_delay_alu instid0(VALU_DEP_1)
	v_lshl_add_u64 v[12:13], v[12:13], 3, v[0:1]
	s_wait_dscnt 0x0
	global_store_b64 v[12:13], v[18:19], off
.LBB18_15:                              ;   in Loop: Header=BB18_3 Depth=1
	s_wait_xcnt 0x0
	s_or_b32 exec_lo, exec_lo, s10
	v_add_nc_u32_e32 v2, 24, v2
	s_delay_alu instid0(VALU_DEP_1)
	v_cmp_gt_u32_e64 s4, s5, v2
	s_and_b32 exec_lo, exec_lo, s4
	s_cbranch_execz .LBB18_2
; %bb.16:                               ;   in Loop: Header=BB18_3 Depth=1
	v_mul_u64_e32 v[12:13], s[14:15], v[2:3]
	ds_load_b64 v[18:19], v17 offset:192
	v_lshl_add_u64 v[12:13], v[12:13], 3, v[0:1]
	s_wait_dscnt 0x0
	global_store_b64 v[12:13], v[18:19], off
	s_branch .LBB18_2
.LBB18_17:                              ;   in Loop: Header=BB18_3 Depth=1
	s_delay_alu instid0(VALU_DEP_1)
	v_lshl_add_u64 v[18:19], v[4:5], 3, v[12:13]
	global_load_b64 v[18:19], v[18:19], off
	s_wait_loadcnt 0x0
	ds_store_b64 v16, v[18:19]
	s_wait_xcnt 0x0
	s_or_b32 exec_lo, exec_lo, s7
	s_nor_b32 s10, s4, s1
	s_delay_alu instid0(SALU_CYCLE_1)
	s_and_saveexec_b32 s7, s10
	s_cbranch_execz .LBB18_5
.LBB18_18:                              ;   in Loop: Header=BB18_3 Depth=1
	v_lshl_add_u64 v[18:19], v[6:7], 3, v[12:13]
	global_load_b64 v[18:19], v[18:19], off
	s_wait_loadcnt 0x0
	ds_store_b64 v16, v[18:19] offset:2048
	s_wait_xcnt 0x0
	s_or_b32 exec_lo, exec_lo, s7
	s_nor_b32 s10, s4, s2
	s_delay_alu instid0(SALU_CYCLE_1)
	s_and_saveexec_b32 s7, s10
	s_cbranch_execz .LBB18_6
.LBB18_19:                              ;   in Loop: Header=BB18_3 Depth=1
	v_lshl_add_u64 v[18:19], v[8:9], 3, v[12:13]
	global_load_b64 v[18:19], v[18:19], off
	s_wait_loadcnt 0x0
	ds_store_b64 v16, v[18:19] offset:4096
	s_wait_xcnt 0x0
	s_or_b32 exec_lo, exec_lo, s7
	s_nor_b32 s7, s4, s3
	s_delay_alu instid0(SALU_CYCLE_1)
	s_and_saveexec_b32 s4, s7
	s_cbranch_execnz .LBB18_7
	s_branch .LBB18_8
.LBB18_20:
	s_endpgm
	.section	.rodata,"a",@progbits
	.p2align	6, 0x0
	.amdhsa_kernel _ZN9rocsparseL27dense_transpose_back_kernelILj32ELj8Ei21rocsparse_complex_numIfEEEvT1_S3_PKT2_lPS4_l
		.amdhsa_group_segment_fixed_size 8192
		.amdhsa_private_segment_fixed_size 0
		.amdhsa_kernarg_size 40
		.amdhsa_user_sgpr_count 2
		.amdhsa_user_sgpr_dispatch_ptr 0
		.amdhsa_user_sgpr_queue_ptr 0
		.amdhsa_user_sgpr_kernarg_segment_ptr 1
		.amdhsa_user_sgpr_dispatch_id 0
		.amdhsa_user_sgpr_kernarg_preload_length 0
		.amdhsa_user_sgpr_kernarg_preload_offset 0
		.amdhsa_user_sgpr_private_segment_size 0
		.amdhsa_wavefront_size32 1
		.amdhsa_uses_dynamic_stack 0
		.amdhsa_enable_private_segment 0
		.amdhsa_system_sgpr_workgroup_id_x 1
		.amdhsa_system_sgpr_workgroup_id_y 0
		.amdhsa_system_sgpr_workgroup_id_z 0
		.amdhsa_system_sgpr_workgroup_info 0
		.amdhsa_system_vgpr_workitem_id 0
		.amdhsa_next_free_vgpr 20
		.amdhsa_next_free_sgpr 16
		.amdhsa_named_barrier_count 0
		.amdhsa_reserve_vcc 1
		.amdhsa_float_round_mode_32 0
		.amdhsa_float_round_mode_16_64 0
		.amdhsa_float_denorm_mode_32 3
		.amdhsa_float_denorm_mode_16_64 3
		.amdhsa_fp16_overflow 0
		.amdhsa_memory_ordered 1
		.amdhsa_forward_progress 1
		.amdhsa_inst_pref_size 7
		.amdhsa_round_robin_scheduling 0
		.amdhsa_exception_fp_ieee_invalid_op 0
		.amdhsa_exception_fp_denorm_src 0
		.amdhsa_exception_fp_ieee_div_zero 0
		.amdhsa_exception_fp_ieee_overflow 0
		.amdhsa_exception_fp_ieee_underflow 0
		.amdhsa_exception_fp_ieee_inexact 0
		.amdhsa_exception_int_div_zero 0
	.end_amdhsa_kernel
	.section	.text._ZN9rocsparseL27dense_transpose_back_kernelILj32ELj8Ei21rocsparse_complex_numIfEEEvT1_S3_PKT2_lPS4_l,"axG",@progbits,_ZN9rocsparseL27dense_transpose_back_kernelILj32ELj8Ei21rocsparse_complex_numIfEEEvT1_S3_PKT2_lPS4_l,comdat
.Lfunc_end18:
	.size	_ZN9rocsparseL27dense_transpose_back_kernelILj32ELj8Ei21rocsparse_complex_numIfEEEvT1_S3_PKT2_lPS4_l, .Lfunc_end18-_ZN9rocsparseL27dense_transpose_back_kernelILj32ELj8Ei21rocsparse_complex_numIfEEEvT1_S3_PKT2_lPS4_l
                                        ; -- End function
	.set _ZN9rocsparseL27dense_transpose_back_kernelILj32ELj8Ei21rocsparse_complex_numIfEEEvT1_S3_PKT2_lPS4_l.num_vgpr, 20
	.set _ZN9rocsparseL27dense_transpose_back_kernelILj32ELj8Ei21rocsparse_complex_numIfEEEvT1_S3_PKT2_lPS4_l.num_agpr, 0
	.set _ZN9rocsparseL27dense_transpose_back_kernelILj32ELj8Ei21rocsparse_complex_numIfEEEvT1_S3_PKT2_lPS4_l.numbered_sgpr, 16
	.set _ZN9rocsparseL27dense_transpose_back_kernelILj32ELj8Ei21rocsparse_complex_numIfEEEvT1_S3_PKT2_lPS4_l.num_named_barrier, 0
	.set _ZN9rocsparseL27dense_transpose_back_kernelILj32ELj8Ei21rocsparse_complex_numIfEEEvT1_S3_PKT2_lPS4_l.private_seg_size, 0
	.set _ZN9rocsparseL27dense_transpose_back_kernelILj32ELj8Ei21rocsparse_complex_numIfEEEvT1_S3_PKT2_lPS4_l.uses_vcc, 1
	.set _ZN9rocsparseL27dense_transpose_back_kernelILj32ELj8Ei21rocsparse_complex_numIfEEEvT1_S3_PKT2_lPS4_l.uses_flat_scratch, 0
	.set _ZN9rocsparseL27dense_transpose_back_kernelILj32ELj8Ei21rocsparse_complex_numIfEEEvT1_S3_PKT2_lPS4_l.has_dyn_sized_stack, 0
	.set _ZN9rocsparseL27dense_transpose_back_kernelILj32ELj8Ei21rocsparse_complex_numIfEEEvT1_S3_PKT2_lPS4_l.has_recursion, 0
	.set _ZN9rocsparseL27dense_transpose_back_kernelILj32ELj8Ei21rocsparse_complex_numIfEEEvT1_S3_PKT2_lPS4_l.has_indirect_call, 0
	.section	.AMDGPU.csdata,"",@progbits
; Kernel info:
; codeLenInByte = 896
; TotalNumSgprs: 18
; NumVgprs: 20
; ScratchSize: 0
; MemoryBound: 0
; FloatMode: 240
; IeeeMode: 1
; LDSByteSize: 8192 bytes/workgroup (compile time only)
; SGPRBlocks: 0
; VGPRBlocks: 1
; NumSGPRsForWavesPerEU: 18
; NumVGPRsForWavesPerEU: 20
; NamedBarCnt: 0
; Occupancy: 16
; WaveLimiterHint : 0
; COMPUTE_PGM_RSRC2:SCRATCH_EN: 0
; COMPUTE_PGM_RSRC2:USER_SGPR: 2
; COMPUTE_PGM_RSRC2:TRAP_HANDLER: 0
; COMPUTE_PGM_RSRC2:TGID_X_EN: 1
; COMPUTE_PGM_RSRC2:TGID_Y_EN: 0
; COMPUTE_PGM_RSRC2:TGID_Z_EN: 0
; COMPUTE_PGM_RSRC2:TIDIG_COMP_CNT: 0
	.section	.text._ZN9rocsparseL27dense_transpose_back_kernelILj32ELj8Ei21rocsparse_complex_numIdEEEvT1_S3_PKT2_lPS4_l,"axG",@progbits,_ZN9rocsparseL27dense_transpose_back_kernelILj32ELj8Ei21rocsparse_complex_numIdEEEvT1_S3_PKT2_lPS4_l,comdat
	.globl	_ZN9rocsparseL27dense_transpose_back_kernelILj32ELj8Ei21rocsparse_complex_numIdEEEvT1_S3_PKT2_lPS4_l ; -- Begin function _ZN9rocsparseL27dense_transpose_back_kernelILj32ELj8Ei21rocsparse_complex_numIdEEEvT1_S3_PKT2_lPS4_l
	.p2align	8
	.type	_ZN9rocsparseL27dense_transpose_back_kernelILj32ELj8Ei21rocsparse_complex_numIdEEEvT1_S3_PKT2_lPS4_l,@function
_ZN9rocsparseL27dense_transpose_back_kernelILj32ELj8Ei21rocsparse_complex_numIdEEEvT1_S3_PKT2_lPS4_l: ; @_ZN9rocsparseL27dense_transpose_back_kernelILj32ELj8Ei21rocsparse_complex_numIdEEEvT1_S3_PKT2_lPS4_l
; %bb.0:
	s_load_b64 s[4:5], s[0:1], 0x0
	s_wait_kmcnt 0x0
	s_cmp_lt_i32 s5, 1
	s_cbranch_scc1 .LBB19_20
; %bb.1:
	s_load_b256 s[8:15], s[0:1], 0x8
	s_bfe_u32 s2, ttmp6, 0x4000c
	s_wait_xcnt 0x0
	s_and_b32 s0, ttmp6, 15
	s_add_co_i32 s2, s2, 1
	v_dual_mov_b32 v3, 0 :: v_dual_lshrrev_b32 v14, 5, v0
	s_mul_i32 s1, ttmp9, s2
	s_getreg_b32 s2, hwreg(HW_REG_IB_STS2, 6, 4)
	s_add_co_i32 s0, s0, s1
	s_cmp_eq_u32 s2, 0
	v_dual_lshlrev_b32 v17, 4, v14 :: v_dual_bitop2_b32 v15, 31, v0 bitop3:0x40
	s_cselect_b32 s0, ttmp9, s0
	v_mov_b32_e32 v13, v3
	s_lshl_b32 s0, s0, 5
	s_mov_b32 s6, 0
	v_dual_mov_b32 v21, v3 :: v_dual_bitop2_b32 v2, s0, v14 bitop3:0x54
	v_or_b32_e32 v0, s0, v15
	v_lshl_or_b32 v17, v15, 9, v17
	s_delay_alu instid0(VALU_DEP_3)
	v_cmp_le_u32_e32 vcc_lo, s4, v2
	v_or_b32_e32 v12, 8, v2
	v_or_b32_e32 v20, 16, v2
	s_wait_kmcnt 0x0
	v_mul_u64_e32 v[4:5], s[10:11], v[2:3]
	v_dual_ashrrev_i32 v1, 31, v0 :: v_dual_bitop2_b32 v2, 24, v2 bitop3:0x54
	v_mul_u64_e32 v[6:7], s[10:11], v[12:13]
	v_lshlrev_b32_e32 v13, 4, v15
	v_mul_u64_e32 v[8:9], s[10:11], v[20:21]
	s_delay_alu instid0(VALU_DEP_4)
	v_mul_u64_e32 v[10:11], s[10:11], v[2:3]
	v_cmp_gt_i32_e64 s0, s4, v0
	v_lshl_add_u64 v[0:1], v[0:1], 4, s[12:13]
	v_lshl_or_b32 v16, v14, 9, v13
	v_cmp_le_u32_e64 s1, s4, v12
	v_cmp_le_u32_e64 s2, s4, v20
	;; [unrolled: 1-line block ×3, first 2 shown]
	v_or_b32_e32 v21, 0x80, v17
	v_or_b32_e32 v18, 0x1000, v16
	;; [unrolled: 1-line block ×6, first 2 shown]
	s_branch .LBB19_3
.LBB19_2:                               ;   in Loop: Header=BB19_3 Depth=1
	s_wait_xcnt 0x0
	s_or_b32 exec_lo, exec_lo, s7
	s_add_co_i32 s6, s6, 32
	s_delay_alu instid0(SALU_CYCLE_1)
	s_cmp_lt_i32 s6, s5
	s_cbranch_scc0 .LBB19_20
.LBB19_3:                               ; =>This Inner Loop Header: Depth=1
	v_add_nc_u32_e32 v12, s6, v15
	s_barrier_signal -1
	s_barrier_wait -1
	s_delay_alu instid0(VALU_DEP_1) | instskip(SKIP_1) | instid1(VALU_DEP_2)
	v_ashrrev_i32_e32 v13, 31, v12
	v_cmp_le_i32_e64 s4, s5, v12
	v_lshl_add_u64 v[12:13], v[12:13], 4, s[8:9]
	s_nor_b32 s10, s4, vcc_lo
	s_delay_alu instid0(SALU_CYCLE_1)
	s_and_saveexec_b32 s7, s10
	s_cbranch_execnz .LBB19_17
; %bb.4:                                ;   in Loop: Header=BB19_3 Depth=1
	s_or_b32 exec_lo, exec_lo, s7
	s_nor_b32 s10, s4, s1
	s_delay_alu instid0(SALU_CYCLE_1)
	s_and_saveexec_b32 s7, s10
	s_cbranch_execnz .LBB19_18
.LBB19_5:                               ;   in Loop: Header=BB19_3 Depth=1
	s_or_b32 exec_lo, exec_lo, s7
	s_nor_b32 s10, s4, s2
	s_delay_alu instid0(SALU_CYCLE_1)
	s_and_saveexec_b32 s7, s10
	s_cbranch_execnz .LBB19_19
.LBB19_6:                               ;   in Loop: Header=BB19_3 Depth=1
	s_or_b32 exec_lo, exec_lo, s7
	s_nor_b32 s7, s4, s3
	s_delay_alu instid0(SALU_CYCLE_1)
	s_and_saveexec_b32 s4, s7
	s_cbranch_execz .LBB19_8
.LBB19_7:                               ;   in Loop: Header=BB19_3 Depth=1
	v_lshl_add_u64 v[12:13], v[10:11], 4, v[12:13]
	global_load_b128 v[24:27], v[12:13], off
	s_wait_loadcnt 0x0
	ds_store_2addr_b64 v20, v[24:25], v[26:27] offset1:1
.LBB19_8:                               ;   in Loop: Header=BB19_3 Depth=1
	s_wait_xcnt 0x0
	s_or_b32 exec_lo, exec_lo, s4
	v_add_nc_u32_e32 v2, s6, v14
	s_wait_dscnt 0x0
	s_barrier_signal -1
	s_barrier_wait -1
	s_delay_alu instid0(VALU_DEP_1) | instskip(SKIP_1) | instid1(SALU_CYCLE_1)
	v_cmp_gt_u32_e64 s4, s5, v2
	s_and_b32 s7, s0, s4
	s_and_saveexec_b32 s4, s7
	s_cbranch_execz .LBB19_10
; %bb.9:                                ;   in Loop: Header=BB19_3 Depth=1
	v_mul_u64_e32 v[12:13], s[14:15], v[2:3]
	ds_load_2addr_b64 v[24:27], v17 offset1:1
	v_lshl_add_u64 v[12:13], v[12:13], 4, v[0:1]
	s_wait_dscnt 0x0
	global_store_b128 v[12:13], v[24:27], off
.LBB19_10:                              ;   in Loop: Header=BB19_3 Depth=1
	s_wait_xcnt 0x0
	s_or_b32 exec_lo, exec_lo, s4
	s_and_saveexec_b32 s7, s0
	s_cbranch_execz .LBB19_2
; %bb.11:                               ;   in Loop: Header=BB19_3 Depth=1
	v_add_nc_u32_e32 v12, 8, v2
	s_mov_b32 s10, exec_lo
	s_delay_alu instid0(VALU_DEP_1)
	v_cmpx_gt_u32_e64 s5, v12
	s_cbranch_execz .LBB19_13
; %bb.12:                               ;   in Loop: Header=BB19_3 Depth=1
	v_mov_b32_e32 v13, v3
	ds_load_2addr_b64 v[24:27], v21 offset1:1
	v_mul_u64_e32 v[12:13], s[14:15], v[12:13]
	s_delay_alu instid0(VALU_DEP_1)
	v_lshl_add_u64 v[12:13], v[12:13], 4, v[0:1]
	s_wait_dscnt 0x0
	global_store_b128 v[12:13], v[24:27], off
.LBB19_13:                              ;   in Loop: Header=BB19_3 Depth=1
	s_wait_xcnt 0x0
	s_or_b32 exec_lo, exec_lo, s10
	v_add_nc_u32_e32 v12, 16, v2
	s_mov_b32 s10, exec_lo
	s_delay_alu instid0(VALU_DEP_1)
	v_cmpx_gt_u32_e64 s5, v12
	s_cbranch_execz .LBB19_15
; %bb.14:                               ;   in Loop: Header=BB19_3 Depth=1
	v_mov_b32_e32 v13, v3
	ds_load_2addr_b64 v[24:27], v22 offset1:1
	v_mul_u64_e32 v[12:13], s[14:15], v[12:13]
	s_delay_alu instid0(VALU_DEP_1)
	v_lshl_add_u64 v[12:13], v[12:13], 4, v[0:1]
	s_wait_dscnt 0x0
	global_store_b128 v[12:13], v[24:27], off
.LBB19_15:                              ;   in Loop: Header=BB19_3 Depth=1
	s_wait_xcnt 0x0
	s_or_b32 exec_lo, exec_lo, s10
	v_add_nc_u32_e32 v2, 24, v2
	s_delay_alu instid0(VALU_DEP_1)
	v_cmp_gt_u32_e64 s4, s5, v2
	s_and_b32 exec_lo, exec_lo, s4
	s_cbranch_execz .LBB19_2
; %bb.16:                               ;   in Loop: Header=BB19_3 Depth=1
	v_mul_u64_e32 v[12:13], s[14:15], v[2:3]
	ds_load_2addr_b64 v[24:27], v23 offset1:1
	v_lshl_add_u64 v[12:13], v[12:13], 4, v[0:1]
	s_wait_dscnt 0x0
	global_store_b128 v[12:13], v[24:27], off
	s_branch .LBB19_2
.LBB19_17:                              ;   in Loop: Header=BB19_3 Depth=1
	s_delay_alu instid0(VALU_DEP_1)
	v_lshl_add_u64 v[24:25], v[4:5], 4, v[12:13]
	global_load_b128 v[24:27], v[24:25], off
	s_wait_loadcnt 0x0
	ds_store_2addr_b64 v16, v[24:25], v[26:27] offset1:1
	s_wait_xcnt 0x0
	s_or_b32 exec_lo, exec_lo, s7
	s_nor_b32 s10, s4, s1
	s_delay_alu instid0(SALU_CYCLE_1)
	s_and_saveexec_b32 s7, s10
	s_cbranch_execz .LBB19_5
.LBB19_18:                              ;   in Loop: Header=BB19_3 Depth=1
	v_lshl_add_u64 v[24:25], v[6:7], 4, v[12:13]
	global_load_b128 v[24:27], v[24:25], off
	s_wait_loadcnt 0x0
	ds_store_2addr_b64 v18, v[24:25], v[26:27] offset1:1
	s_wait_xcnt 0x0
	s_or_b32 exec_lo, exec_lo, s7
	s_nor_b32 s10, s4, s2
	s_delay_alu instid0(SALU_CYCLE_1)
	s_and_saveexec_b32 s7, s10
	s_cbranch_execz .LBB19_6
.LBB19_19:                              ;   in Loop: Header=BB19_3 Depth=1
	v_lshl_add_u64 v[24:25], v[8:9], 4, v[12:13]
	global_load_b128 v[24:27], v[24:25], off
	s_wait_loadcnt 0x0
	ds_store_2addr_b64 v19, v[24:25], v[26:27] offset1:1
	s_wait_xcnt 0x0
	s_or_b32 exec_lo, exec_lo, s7
	s_nor_b32 s7, s4, s3
	s_delay_alu instid0(SALU_CYCLE_1)
	s_and_saveexec_b32 s4, s7
	s_cbranch_execnz .LBB19_7
	s_branch .LBB19_8
.LBB19_20:
	s_endpgm
	.section	.rodata,"a",@progbits
	.p2align	6, 0x0
	.amdhsa_kernel _ZN9rocsparseL27dense_transpose_back_kernelILj32ELj8Ei21rocsparse_complex_numIdEEEvT1_S3_PKT2_lPS4_l
		.amdhsa_group_segment_fixed_size 16384
		.amdhsa_private_segment_fixed_size 0
		.amdhsa_kernarg_size 40
		.amdhsa_user_sgpr_count 2
		.amdhsa_user_sgpr_dispatch_ptr 0
		.amdhsa_user_sgpr_queue_ptr 0
		.amdhsa_user_sgpr_kernarg_segment_ptr 1
		.amdhsa_user_sgpr_dispatch_id 0
		.amdhsa_user_sgpr_kernarg_preload_length 0
		.amdhsa_user_sgpr_kernarg_preload_offset 0
		.amdhsa_user_sgpr_private_segment_size 0
		.amdhsa_wavefront_size32 1
		.amdhsa_uses_dynamic_stack 0
		.amdhsa_enable_private_segment 0
		.amdhsa_system_sgpr_workgroup_id_x 1
		.amdhsa_system_sgpr_workgroup_id_y 0
		.amdhsa_system_sgpr_workgroup_id_z 0
		.amdhsa_system_sgpr_workgroup_info 0
		.amdhsa_system_vgpr_workitem_id 0
		.amdhsa_next_free_vgpr 28
		.amdhsa_next_free_sgpr 16
		.amdhsa_named_barrier_count 0
		.amdhsa_reserve_vcc 1
		.amdhsa_float_round_mode_32 0
		.amdhsa_float_round_mode_16_64 0
		.amdhsa_float_denorm_mode_32 3
		.amdhsa_float_denorm_mode_16_64 3
		.amdhsa_fp16_overflow 0
		.amdhsa_memory_ordered 1
		.amdhsa_forward_progress 1
		.amdhsa_inst_pref_size 8
		.amdhsa_round_robin_scheduling 0
		.amdhsa_exception_fp_ieee_invalid_op 0
		.amdhsa_exception_fp_denorm_src 0
		.amdhsa_exception_fp_ieee_div_zero 0
		.amdhsa_exception_fp_ieee_overflow 0
		.amdhsa_exception_fp_ieee_underflow 0
		.amdhsa_exception_fp_ieee_inexact 0
		.amdhsa_exception_int_div_zero 0
	.end_amdhsa_kernel
	.section	.text._ZN9rocsparseL27dense_transpose_back_kernelILj32ELj8Ei21rocsparse_complex_numIdEEEvT1_S3_PKT2_lPS4_l,"axG",@progbits,_ZN9rocsparseL27dense_transpose_back_kernelILj32ELj8Ei21rocsparse_complex_numIdEEEvT1_S3_PKT2_lPS4_l,comdat
.Lfunc_end19:
	.size	_ZN9rocsparseL27dense_transpose_back_kernelILj32ELj8Ei21rocsparse_complex_numIdEEEvT1_S3_PKT2_lPS4_l, .Lfunc_end19-_ZN9rocsparseL27dense_transpose_back_kernelILj32ELj8Ei21rocsparse_complex_numIdEEEvT1_S3_PKT2_lPS4_l
                                        ; -- End function
	.set _ZN9rocsparseL27dense_transpose_back_kernelILj32ELj8Ei21rocsparse_complex_numIdEEEvT1_S3_PKT2_lPS4_l.num_vgpr, 28
	.set _ZN9rocsparseL27dense_transpose_back_kernelILj32ELj8Ei21rocsparse_complex_numIdEEEvT1_S3_PKT2_lPS4_l.num_agpr, 0
	.set _ZN9rocsparseL27dense_transpose_back_kernelILj32ELj8Ei21rocsparse_complex_numIdEEEvT1_S3_PKT2_lPS4_l.numbered_sgpr, 16
	.set _ZN9rocsparseL27dense_transpose_back_kernelILj32ELj8Ei21rocsparse_complex_numIdEEEvT1_S3_PKT2_lPS4_l.num_named_barrier, 0
	.set _ZN9rocsparseL27dense_transpose_back_kernelILj32ELj8Ei21rocsparse_complex_numIdEEEvT1_S3_PKT2_lPS4_l.private_seg_size, 0
	.set _ZN9rocsparseL27dense_transpose_back_kernelILj32ELj8Ei21rocsparse_complex_numIdEEEvT1_S3_PKT2_lPS4_l.uses_vcc, 1
	.set _ZN9rocsparseL27dense_transpose_back_kernelILj32ELj8Ei21rocsparse_complex_numIdEEEvT1_S3_PKT2_lPS4_l.uses_flat_scratch, 0
	.set _ZN9rocsparseL27dense_transpose_back_kernelILj32ELj8Ei21rocsparse_complex_numIdEEEvT1_S3_PKT2_lPS4_l.has_dyn_sized_stack, 0
	.set _ZN9rocsparseL27dense_transpose_back_kernelILj32ELj8Ei21rocsparse_complex_numIdEEEvT1_S3_PKT2_lPS4_l.has_recursion, 0
	.set _ZN9rocsparseL27dense_transpose_back_kernelILj32ELj8Ei21rocsparse_complex_numIdEEEvT1_S3_PKT2_lPS4_l.has_indirect_call, 0
	.section	.AMDGPU.csdata,"",@progbits
; Kernel info:
; codeLenInByte = 944
; TotalNumSgprs: 18
; NumVgprs: 28
; ScratchSize: 0
; MemoryBound: 0
; FloatMode: 240
; IeeeMode: 1
; LDSByteSize: 16384 bytes/workgroup (compile time only)
; SGPRBlocks: 0
; VGPRBlocks: 1
; NumSGPRsForWavesPerEU: 18
; NumVGPRsForWavesPerEU: 28
; NamedBarCnt: 0
; Occupancy: 16
; WaveLimiterHint : 0
; COMPUTE_PGM_RSRC2:SCRATCH_EN: 0
; COMPUTE_PGM_RSRC2:USER_SGPR: 2
; COMPUTE_PGM_RSRC2:TRAP_HANDLER: 0
; COMPUTE_PGM_RSRC2:TGID_X_EN: 1
; COMPUTE_PGM_RSRC2:TGID_Y_EN: 0
; COMPUTE_PGM_RSRC2:TGID_Z_EN: 0
; COMPUTE_PGM_RSRC2:TIDIG_COMP_CNT: 0
	.section	.text._ZN9rocsparseL27dense_transpose_back_kernelILj32ELj8ElfEEvT1_S1_PKT2_lPS2_l,"axG",@progbits,_ZN9rocsparseL27dense_transpose_back_kernelILj32ELj8ElfEEvT1_S1_PKT2_lPS2_l,comdat
	.globl	_ZN9rocsparseL27dense_transpose_back_kernelILj32ELj8ElfEEvT1_S1_PKT2_lPS2_l ; -- Begin function _ZN9rocsparseL27dense_transpose_back_kernelILj32ELj8ElfEEvT1_S1_PKT2_lPS2_l
	.p2align	8
	.type	_ZN9rocsparseL27dense_transpose_back_kernelILj32ELj8ElfEEvT1_S1_PKT2_lPS2_l,@function
_ZN9rocsparseL27dense_transpose_back_kernelILj32ELj8ElfEEvT1_S1_PKT2_lPS2_l: ; @_ZN9rocsparseL27dense_transpose_back_kernelILj32ELj8ElfEEvT1_S1_PKT2_lPS2_l
; %bb.0:
	s_load_b256 s[4:11], s[0:1], 0x0
	s_wait_kmcnt 0x0
	v_cmp_lt_i64_e64 s2, s[6:7], 1
	s_and_b32 vcc_lo, exec_lo, s2
	s_cbranch_vccnz .LBB20_20
; %bb.1:
	s_bfe_u32 s2, ttmp6, 0x4000c
	s_load_b128 s[12:15], s[0:1], 0x20
	s_add_co_i32 s2, s2, 1
	s_wait_xcnt 0x0
	s_and_b32 s0, ttmp6, 15
	s_mul_i32 s1, ttmp9, s2
	s_getreg_b32 s2, hwreg(HW_REG_IB_STS2, 6, 4)
	s_add_co_i32 s0, s0, s1
	s_cmp_eq_u32 s2, 0
	v_dual_mov_b32 v5, 0 :: v_dual_lshrrev_b32 v2, 5, v0
	s_cselect_b32 s0, ttmp9, s0
	v_and_b32_e32 v0, 31, v0
	s_lshl_b32 s0, s0, 5
	s_delay_alu instid0(VALU_DEP_2) | instskip(SKIP_2) | instid1(VALU_DEP_2)
	v_dual_mov_b32 v7, v5 :: v_dual_bitop2_b32 v8, 24, v2 bitop3:0x54
	v_dual_mov_b32 v3, v5 :: v_dual_bitop2_b32 v4, s0, v2 bitop3:0x54
	v_dual_mov_b32 v9, v5 :: v_dual_mov_b32 v11, v5
	v_dual_mov_b32 v13, v5 :: v_dual_bitop2_b32 v12, 24, v4 bitop3:0x54
	v_or_b32_e32 v6, 8, v4
	v_or_b32_e32 v10, 16, v4
	s_wait_kmcnt 0x0
	v_mul_u64_e32 v[14:15], s[14:15], v[2:3]
	v_mul_u64_e32 v[18:19], s[10:11], v[4:5]
	;; [unrolled: 1-line block ×5, first 2 shown]
	v_dual_mov_b32 v17, v5 :: v_dual_bitop2_b32 v16, 16, v2 bitop3:0x54
	v_dual_mov_b32 v25, v5 :: v_dual_bitop2_b32 v24, 8, v2 bitop3:0x54
	v_mul_u64_e32 v[8:9], s[14:15], v[8:9]
	v_dual_mov_b32 v1, v5 :: v_dual_mov_b32 v33, v5
	s_delay_alu instid0(VALU_DEP_4) | instskip(NEXT) | instid1(VALU_DEP_4)
	v_mul_u64_e32 v[28:29], s[14:15], v[16:17]
	v_mul_u64_e32 v[30:31], s[14:15], v[24:25]
	v_dual_lshlrev_b32 v25, 2, v2 :: v_dual_lshlrev_b32 v32, 2, v0
	v_or_b32_e32 v16, s0, v0
	v_cmp_le_i64_e64 s1, s[4:5], v[4:5]
	v_cmp_le_i64_e64 s2, s[4:5], v[6:7]
	;; [unrolled: 1-line block ×3, first 2 shown]
	v_lshl_or_b32 v24, v2, 7, v32
	v_cmp_gt_i64_e64 s0, s[4:5], v[16:17]
	v_lshlrev_b64_e32 v[4:5], 2, v[16:17]
	v_cmp_le_i64_e64 s4, s[4:5], v[12:13]
	v_lshl_or_b32 v25, v0, 7, v25
	s_mov_b64 s[10:11], 0
	v_lshl_add_u64 v[6:7], v[14:15], 2, s[12:13]
	v_lshl_add_u64 v[10:11], v[18:19], 2, v[32:33]
	;; [unrolled: 1-line block ×5, first 2 shown]
	s_delay_alu instid0(VALU_DEP_4) | instskip(NEXT) | instid1(VALU_DEP_4)
	v_add_nc_u64_e32 v[10:11], s[8:9], v[10:11]
	v_add_nc_u64_e32 v[16:17], s[8:9], v[16:17]
	s_delay_alu instid0(VALU_DEP_4) | instskip(NEXT) | instid1(VALU_DEP_4)
	v_add_nc_u64_e32 v[12:13], s[8:9], v[12:13]
	v_add_nc_u64_e32 v[14:15], s[8:9], v[14:15]
	v_lshl_add_u64 v[8:9], v[8:9], 2, s[12:13]
	s_lshl_b64 s[8:9], s[14:15], 7
	v_lshl_add_u64 v[18:19], v[28:29], 2, s[12:13]
	v_lshl_add_u64 v[20:21], v[30:31], 2, s[12:13]
	s_branch .LBB20_3
.LBB20_2:                               ;   in Loop: Header=BB20_3 Depth=1
	s_wait_xcnt 0x0
	s_or_b32 exec_lo, exec_lo, s5
	s_add_nc_u64 s[10:11], s[10:11], 32
	v_add_nc_u64_e32 v[6:7], s[8:9], v[6:7]
	v_cmp_lt_i64_e64 s5, s[10:11], s[6:7]
	v_add_nc_u64_e32 v[8:9], s[8:9], v[8:9]
	v_add_nc_u64_e32 v[18:19], s[8:9], v[18:19]
	;; [unrolled: 1-line block ×7, first 2 shown]
	s_and_b32 vcc_lo, exec_lo, s5
	s_cbranch_vccz .LBB20_20
.LBB20_3:                               ; =>This Inner Loop Header: Depth=1
	v_add_nc_u64_e32 v[22:23], s[10:11], v[0:1]
	s_barrier_signal -1
	s_barrier_wait -1
	s_delay_alu instid0(VALU_DEP_1) | instskip(SKIP_1) | instid1(SALU_CYCLE_1)
	v_cmp_le_i64_e32 vcc_lo, s[6:7], v[22:23]
	s_nor_b32 s12, vcc_lo, s1
	s_and_saveexec_b32 s5, s12
	s_cbranch_execnz .LBB20_17
; %bb.4:                                ;   in Loop: Header=BB20_3 Depth=1
	s_or_b32 exec_lo, exec_lo, s5
	s_nor_b32 s12, vcc_lo, s2
	s_delay_alu instid0(SALU_CYCLE_1)
	s_and_saveexec_b32 s5, s12
	s_cbranch_execnz .LBB20_18
.LBB20_5:                               ;   in Loop: Header=BB20_3 Depth=1
	s_or_b32 exec_lo, exec_lo, s5
	s_nor_b32 s12, vcc_lo, s3
	s_delay_alu instid0(SALU_CYCLE_1)
	s_and_saveexec_b32 s5, s12
	s_cbranch_execnz .LBB20_19
.LBB20_6:                               ;   in Loop: Header=BB20_3 Depth=1
	s_or_b32 exec_lo, exec_lo, s5
	s_nor_b32 s12, vcc_lo, s4
	s_delay_alu instid0(SALU_CYCLE_1)
	s_and_saveexec_b32 s5, s12
	s_cbranch_execz .LBB20_8
.LBB20_7:                               ;   in Loop: Header=BB20_3 Depth=1
	global_load_b32 v22, v[16:17], off
	s_wait_loadcnt 0x0
	ds_store_b32 v24, v22 offset:3072
.LBB20_8:                               ;   in Loop: Header=BB20_3 Depth=1
	s_wait_xcnt 0x0
	s_or_b32 exec_lo, exec_lo, s5
	v_add_nc_u64_e32 v[22:23], s[10:11], v[2:3]
	s_wait_dscnt 0x0
	s_barrier_signal -1
	s_barrier_wait -1
	s_delay_alu instid0(VALU_DEP_1) | instskip(SKIP_1) | instid1(SALU_CYCLE_1)
	v_cmp_gt_i64_e32 vcc_lo, s[6:7], v[22:23]
	s_and_b32 s12, s0, vcc_lo
	s_and_saveexec_b32 s5, s12
	s_cbranch_execz .LBB20_10
; %bb.9:                                ;   in Loop: Header=BB20_3 Depth=1
	ds_load_b32 v28, v25
	v_add_nc_u64_e32 v[26:27], v[6:7], v[4:5]
	s_wait_dscnt 0x0
	global_store_b32 v[26:27], v28, off
.LBB20_10:                              ;   in Loop: Header=BB20_3 Depth=1
	s_wait_xcnt 0x0
	s_or_b32 exec_lo, exec_lo, s5
	s_and_saveexec_b32 s5, s0
	s_cbranch_execz .LBB20_2
; %bb.11:                               ;   in Loop: Header=BB20_3 Depth=1
	v_add_nc_u64_e32 v[26:27], 8, v[22:23]
	s_mov_b32 s12, exec_lo
	s_delay_alu instid0(VALU_DEP_1)
	v_cmpx_gt_i64_e64 s[6:7], v[26:27]
	s_cbranch_execz .LBB20_13
; %bb.12:                               ;   in Loop: Header=BB20_3 Depth=1
	ds_load_b32 v28, v25 offset:32
	v_add_nc_u64_e32 v[26:27], v[20:21], v[4:5]
	s_wait_dscnt 0x0
	global_store_b32 v[26:27], v28, off
.LBB20_13:                              ;   in Loop: Header=BB20_3 Depth=1
	s_wait_xcnt 0x0
	s_or_b32 exec_lo, exec_lo, s12
	v_add_nc_u64_e32 v[26:27], 16, v[22:23]
	s_mov_b32 s12, exec_lo
	s_delay_alu instid0(VALU_DEP_1)
	v_cmpx_gt_i64_e64 s[6:7], v[26:27]
	s_cbranch_execz .LBB20_15
; %bb.14:                               ;   in Loop: Header=BB20_3 Depth=1
	ds_load_b32 v28, v25 offset:64
	v_add_nc_u64_e32 v[26:27], v[18:19], v[4:5]
	s_wait_dscnt 0x0
	global_store_b32 v[26:27], v28, off
.LBB20_15:                              ;   in Loop: Header=BB20_3 Depth=1
	s_wait_xcnt 0x0
	s_or_b32 exec_lo, exec_lo, s12
	v_add_nc_u64_e32 v[22:23], 24, v[22:23]
	s_delay_alu instid0(VALU_DEP_1)
	v_cmp_gt_i64_e32 vcc_lo, s[6:7], v[22:23]
	s_and_b32 exec_lo, exec_lo, vcc_lo
	s_cbranch_execz .LBB20_2
; %bb.16:                               ;   in Loop: Header=BB20_3 Depth=1
	ds_load_b32 v26, v25 offset:96
	v_add_nc_u64_e32 v[22:23], v[8:9], v[4:5]
	s_wait_dscnt 0x0
	global_store_b32 v[22:23], v26, off
	s_branch .LBB20_2
.LBB20_17:                              ;   in Loop: Header=BB20_3 Depth=1
	global_load_b32 v22, v[10:11], off
	s_wait_loadcnt 0x0
	ds_store_b32 v24, v22
	s_wait_xcnt 0x0
	s_or_b32 exec_lo, exec_lo, s5
	s_nor_b32 s12, vcc_lo, s2
	s_delay_alu instid0(SALU_CYCLE_1)
	s_and_saveexec_b32 s5, s12
	s_cbranch_execz .LBB20_5
.LBB20_18:                              ;   in Loop: Header=BB20_3 Depth=1
	global_load_b32 v22, v[12:13], off
	s_wait_loadcnt 0x0
	ds_store_b32 v24, v22 offset:1024
	s_wait_xcnt 0x0
	s_or_b32 exec_lo, exec_lo, s5
	s_nor_b32 s12, vcc_lo, s3
	s_delay_alu instid0(SALU_CYCLE_1)
	s_and_saveexec_b32 s5, s12
	s_cbranch_execz .LBB20_6
.LBB20_19:                              ;   in Loop: Header=BB20_3 Depth=1
	global_load_b32 v22, v[14:15], off
	s_wait_loadcnt 0x0
	ds_store_b32 v24, v22 offset:2048
	s_wait_xcnt 0x0
	s_or_b32 exec_lo, exec_lo, s5
	s_nor_b32 s12, vcc_lo, s4
	s_delay_alu instid0(SALU_CYCLE_1)
	s_and_saveexec_b32 s5, s12
	s_cbranch_execnz .LBB20_7
	s_branch .LBB20_8
.LBB20_20:
	s_endpgm
	.section	.rodata,"a",@progbits
	.p2align	6, 0x0
	.amdhsa_kernel _ZN9rocsparseL27dense_transpose_back_kernelILj32ELj8ElfEEvT1_S1_PKT2_lPS2_l
		.amdhsa_group_segment_fixed_size 4096
		.amdhsa_private_segment_fixed_size 0
		.amdhsa_kernarg_size 48
		.amdhsa_user_sgpr_count 2
		.amdhsa_user_sgpr_dispatch_ptr 0
		.amdhsa_user_sgpr_queue_ptr 0
		.amdhsa_user_sgpr_kernarg_segment_ptr 1
		.amdhsa_user_sgpr_dispatch_id 0
		.amdhsa_user_sgpr_kernarg_preload_length 0
		.amdhsa_user_sgpr_kernarg_preload_offset 0
		.amdhsa_user_sgpr_private_segment_size 0
		.amdhsa_wavefront_size32 1
		.amdhsa_uses_dynamic_stack 0
		.amdhsa_enable_private_segment 0
		.amdhsa_system_sgpr_workgroup_id_x 1
		.amdhsa_system_sgpr_workgroup_id_y 0
		.amdhsa_system_sgpr_workgroup_id_z 0
		.amdhsa_system_sgpr_workgroup_info 0
		.amdhsa_system_vgpr_workitem_id 0
		.amdhsa_next_free_vgpr 34
		.amdhsa_next_free_sgpr 16
		.amdhsa_named_barrier_count 0
		.amdhsa_reserve_vcc 1
		.amdhsa_float_round_mode_32 0
		.amdhsa_float_round_mode_16_64 0
		.amdhsa_float_denorm_mode_32 3
		.amdhsa_float_denorm_mode_16_64 3
		.amdhsa_fp16_overflow 0
		.amdhsa_memory_ordered 1
		.amdhsa_forward_progress 1
		.amdhsa_inst_pref_size 8
		.amdhsa_round_robin_scheduling 0
		.amdhsa_exception_fp_ieee_invalid_op 0
		.amdhsa_exception_fp_denorm_src 0
		.amdhsa_exception_fp_ieee_div_zero 0
		.amdhsa_exception_fp_ieee_overflow 0
		.amdhsa_exception_fp_ieee_underflow 0
		.amdhsa_exception_fp_ieee_inexact 0
		.amdhsa_exception_int_div_zero 0
	.end_amdhsa_kernel
	.section	.text._ZN9rocsparseL27dense_transpose_back_kernelILj32ELj8ElfEEvT1_S1_PKT2_lPS2_l,"axG",@progbits,_ZN9rocsparseL27dense_transpose_back_kernelILj32ELj8ElfEEvT1_S1_PKT2_lPS2_l,comdat
.Lfunc_end20:
	.size	_ZN9rocsparseL27dense_transpose_back_kernelILj32ELj8ElfEEvT1_S1_PKT2_lPS2_l, .Lfunc_end20-_ZN9rocsparseL27dense_transpose_back_kernelILj32ELj8ElfEEvT1_S1_PKT2_lPS2_l
                                        ; -- End function
	.set _ZN9rocsparseL27dense_transpose_back_kernelILj32ELj8ElfEEvT1_S1_PKT2_lPS2_l.num_vgpr, 34
	.set _ZN9rocsparseL27dense_transpose_back_kernelILj32ELj8ElfEEvT1_S1_PKT2_lPS2_l.num_agpr, 0
	.set _ZN9rocsparseL27dense_transpose_back_kernelILj32ELj8ElfEEvT1_S1_PKT2_lPS2_l.numbered_sgpr, 16
	.set _ZN9rocsparseL27dense_transpose_back_kernelILj32ELj8ElfEEvT1_S1_PKT2_lPS2_l.num_named_barrier, 0
	.set _ZN9rocsparseL27dense_transpose_back_kernelILj32ELj8ElfEEvT1_S1_PKT2_lPS2_l.private_seg_size, 0
	.set _ZN9rocsparseL27dense_transpose_back_kernelILj32ELj8ElfEEvT1_S1_PKT2_lPS2_l.uses_vcc, 1
	.set _ZN9rocsparseL27dense_transpose_back_kernelILj32ELj8ElfEEvT1_S1_PKT2_lPS2_l.uses_flat_scratch, 0
	.set _ZN9rocsparseL27dense_transpose_back_kernelILj32ELj8ElfEEvT1_S1_PKT2_lPS2_l.has_dyn_sized_stack, 0
	.set _ZN9rocsparseL27dense_transpose_back_kernelILj32ELj8ElfEEvT1_S1_PKT2_lPS2_l.has_recursion, 0
	.set _ZN9rocsparseL27dense_transpose_back_kernelILj32ELj8ElfEEvT1_S1_PKT2_lPS2_l.has_indirect_call, 0
	.section	.AMDGPU.csdata,"",@progbits
; Kernel info:
; codeLenInByte = 1008
; TotalNumSgprs: 18
; NumVgprs: 34
; ScratchSize: 0
; MemoryBound: 0
; FloatMode: 240
; IeeeMode: 1
; LDSByteSize: 4096 bytes/workgroup (compile time only)
; SGPRBlocks: 0
; VGPRBlocks: 2
; NumSGPRsForWavesPerEU: 18
; NumVGPRsForWavesPerEU: 34
; NamedBarCnt: 0
; Occupancy: 16
; WaveLimiterHint : 0
; COMPUTE_PGM_RSRC2:SCRATCH_EN: 0
; COMPUTE_PGM_RSRC2:USER_SGPR: 2
; COMPUTE_PGM_RSRC2:TRAP_HANDLER: 0
; COMPUTE_PGM_RSRC2:TGID_X_EN: 1
; COMPUTE_PGM_RSRC2:TGID_Y_EN: 0
; COMPUTE_PGM_RSRC2:TGID_Z_EN: 0
; COMPUTE_PGM_RSRC2:TIDIG_COMP_CNT: 0
	.section	.text._ZN9rocsparseL27dense_transpose_back_kernelILj32ELj8EldEEvT1_S1_PKT2_lPS2_l,"axG",@progbits,_ZN9rocsparseL27dense_transpose_back_kernelILj32ELj8EldEEvT1_S1_PKT2_lPS2_l,comdat
	.globl	_ZN9rocsparseL27dense_transpose_back_kernelILj32ELj8EldEEvT1_S1_PKT2_lPS2_l ; -- Begin function _ZN9rocsparseL27dense_transpose_back_kernelILj32ELj8EldEEvT1_S1_PKT2_lPS2_l
	.p2align	8
	.type	_ZN9rocsparseL27dense_transpose_back_kernelILj32ELj8EldEEvT1_S1_PKT2_lPS2_l,@function
_ZN9rocsparseL27dense_transpose_back_kernelILj32ELj8EldEEvT1_S1_PKT2_lPS2_l: ; @_ZN9rocsparseL27dense_transpose_back_kernelILj32ELj8EldEEvT1_S1_PKT2_lPS2_l
; %bb.0:
	s_load_b256 s[4:11], s[0:1], 0x0
	s_wait_kmcnt 0x0
	v_cmp_lt_i64_e64 s2, s[6:7], 1
	s_and_b32 vcc_lo, exec_lo, s2
	s_cbranch_vccnz .LBB21_20
; %bb.1:
	s_bfe_u32 s2, ttmp6, 0x4000c
	s_load_b128 s[12:15], s[0:1], 0x20
	s_add_co_i32 s2, s2, 1
	s_wait_xcnt 0x0
	s_and_b32 s0, ttmp6, 15
	s_mul_i32 s1, ttmp9, s2
	s_getreg_b32 s2, hwreg(HW_REG_IB_STS2, 6, 4)
	s_add_co_i32 s0, s0, s1
	s_cmp_eq_u32 s2, 0
	v_dual_mov_b32 v5, 0 :: v_dual_lshrrev_b32 v2, 5, v0
	s_cselect_b32 s0, ttmp9, s0
	v_and_b32_e32 v0, 31, v0
	s_lshl_b32 s0, s0, 5
	s_delay_alu instid0(VALU_DEP_2) | instskip(SKIP_2) | instid1(VALU_DEP_2)
	v_dual_mov_b32 v7, v5 :: v_dual_bitop2_b32 v8, 24, v2 bitop3:0x54
	v_dual_mov_b32 v3, v5 :: v_dual_bitop2_b32 v4, s0, v2 bitop3:0x54
	v_dual_mov_b32 v9, v5 :: v_dual_mov_b32 v11, v5
	v_dual_mov_b32 v13, v5 :: v_dual_bitop2_b32 v12, 24, v4 bitop3:0x54
	v_or_b32_e32 v6, 8, v4
	v_or_b32_e32 v10, 16, v4
	s_wait_kmcnt 0x0
	v_mul_u64_e32 v[14:15], s[14:15], v[2:3]
	v_mul_u64_e32 v[18:19], s[10:11], v[4:5]
	;; [unrolled: 1-line block ×5, first 2 shown]
	v_dual_mov_b32 v17, v5 :: v_dual_bitop2_b32 v16, 16, v2 bitop3:0x54
	v_dual_mov_b32 v25, v5 :: v_dual_bitop2_b32 v24, 8, v2 bitop3:0x54
	v_mul_u64_e32 v[8:9], s[14:15], v[8:9]
	v_dual_mov_b32 v1, v5 :: v_dual_mov_b32 v33, v5
	s_delay_alu instid0(VALU_DEP_4) | instskip(NEXT) | instid1(VALU_DEP_4)
	v_mul_u64_e32 v[28:29], s[14:15], v[16:17]
	v_mul_u64_e32 v[30:31], s[14:15], v[24:25]
	v_dual_lshlrev_b32 v25, 3, v2 :: v_dual_lshlrev_b32 v32, 3, v0
	v_or_b32_e32 v16, s0, v0
	v_cmp_le_i64_e64 s1, s[4:5], v[4:5]
	v_cmp_le_i64_e64 s2, s[4:5], v[6:7]
	;; [unrolled: 1-line block ×3, first 2 shown]
	v_lshl_or_b32 v24, v2, 8, v32
	v_cmp_gt_i64_e64 s0, s[4:5], v[16:17]
	v_lshlrev_b64_e32 v[4:5], 3, v[16:17]
	v_cmp_le_i64_e64 s4, s[4:5], v[12:13]
	v_lshl_or_b32 v25, v0, 8, v25
	s_mov_b64 s[10:11], 0
	v_lshl_add_u64 v[6:7], v[14:15], 3, s[12:13]
	v_lshl_add_u64 v[10:11], v[18:19], 3, v[32:33]
	;; [unrolled: 1-line block ×5, first 2 shown]
	s_delay_alu instid0(VALU_DEP_4) | instskip(NEXT) | instid1(VALU_DEP_4)
	v_add_nc_u64_e32 v[10:11], s[8:9], v[10:11]
	v_add_nc_u64_e32 v[16:17], s[8:9], v[16:17]
	s_delay_alu instid0(VALU_DEP_4) | instskip(NEXT) | instid1(VALU_DEP_4)
	v_add_nc_u64_e32 v[12:13], s[8:9], v[12:13]
	v_add_nc_u64_e32 v[14:15], s[8:9], v[14:15]
	v_lshl_add_u64 v[8:9], v[8:9], 3, s[12:13]
	s_lshl_b64 s[8:9], s[14:15], 8
	v_lshl_add_u64 v[18:19], v[28:29], 3, s[12:13]
	v_lshl_add_u64 v[20:21], v[30:31], 3, s[12:13]
	s_branch .LBB21_3
.LBB21_2:                               ;   in Loop: Header=BB21_3 Depth=1
	s_wait_xcnt 0x0
	s_or_b32 exec_lo, exec_lo, s5
	s_add_nc_u64 s[10:11], s[10:11], 32
	v_add_nc_u64_e32 v[6:7], s[8:9], v[6:7]
	v_cmp_lt_i64_e64 s5, s[10:11], s[6:7]
	v_add_nc_u64_e32 v[8:9], s[8:9], v[8:9]
	v_add_nc_u64_e32 v[18:19], s[8:9], v[18:19]
	;; [unrolled: 1-line block ×7, first 2 shown]
	s_and_b32 vcc_lo, exec_lo, s5
	s_cbranch_vccz .LBB21_20
.LBB21_3:                               ; =>This Inner Loop Header: Depth=1
	v_add_nc_u64_e32 v[22:23], s[10:11], v[0:1]
	s_barrier_signal -1
	s_barrier_wait -1
	s_delay_alu instid0(VALU_DEP_1) | instskip(SKIP_1) | instid1(SALU_CYCLE_1)
	v_cmp_le_i64_e32 vcc_lo, s[6:7], v[22:23]
	s_nor_b32 s12, vcc_lo, s1
	s_and_saveexec_b32 s5, s12
	s_cbranch_execnz .LBB21_17
; %bb.4:                                ;   in Loop: Header=BB21_3 Depth=1
	s_or_b32 exec_lo, exec_lo, s5
	s_nor_b32 s12, vcc_lo, s2
	s_delay_alu instid0(SALU_CYCLE_1)
	s_and_saveexec_b32 s5, s12
	s_cbranch_execnz .LBB21_18
.LBB21_5:                               ;   in Loop: Header=BB21_3 Depth=1
	s_or_b32 exec_lo, exec_lo, s5
	s_nor_b32 s12, vcc_lo, s3
	s_delay_alu instid0(SALU_CYCLE_1)
	s_and_saveexec_b32 s5, s12
	s_cbranch_execnz .LBB21_19
.LBB21_6:                               ;   in Loop: Header=BB21_3 Depth=1
	s_or_b32 exec_lo, exec_lo, s5
	s_nor_b32 s12, vcc_lo, s4
	s_delay_alu instid0(SALU_CYCLE_1)
	s_and_saveexec_b32 s5, s12
	s_cbranch_execz .LBB21_8
.LBB21_7:                               ;   in Loop: Header=BB21_3 Depth=1
	global_load_b64 v[22:23], v[16:17], off
	s_wait_loadcnt 0x0
	ds_store_b64 v24, v[22:23] offset:6144
.LBB21_8:                               ;   in Loop: Header=BB21_3 Depth=1
	s_wait_xcnt 0x0
	s_or_b32 exec_lo, exec_lo, s5
	v_add_nc_u64_e32 v[22:23], s[10:11], v[2:3]
	s_wait_dscnt 0x0
	s_barrier_signal -1
	s_barrier_wait -1
	s_delay_alu instid0(VALU_DEP_1) | instskip(SKIP_1) | instid1(SALU_CYCLE_1)
	v_cmp_gt_i64_e32 vcc_lo, s[6:7], v[22:23]
	s_and_b32 s12, s0, vcc_lo
	s_and_saveexec_b32 s5, s12
	s_cbranch_execz .LBB21_10
; %bb.9:                                ;   in Loop: Header=BB21_3 Depth=1
	ds_load_b64 v[26:27], v25
	v_add_nc_u64_e32 v[28:29], v[6:7], v[4:5]
	s_wait_dscnt 0x0
	global_store_b64 v[28:29], v[26:27], off
.LBB21_10:                              ;   in Loop: Header=BB21_3 Depth=1
	s_wait_xcnt 0x0
	s_or_b32 exec_lo, exec_lo, s5
	s_and_saveexec_b32 s5, s0
	s_cbranch_execz .LBB21_2
; %bb.11:                               ;   in Loop: Header=BB21_3 Depth=1
	v_add_nc_u64_e32 v[26:27], 8, v[22:23]
	s_mov_b32 s12, exec_lo
	s_delay_alu instid0(VALU_DEP_1)
	v_cmpx_gt_i64_e64 s[6:7], v[26:27]
	s_cbranch_execz .LBB21_13
; %bb.12:                               ;   in Loop: Header=BB21_3 Depth=1
	ds_load_b64 v[26:27], v25 offset:64
	v_add_nc_u64_e32 v[28:29], v[20:21], v[4:5]
	s_wait_dscnt 0x0
	global_store_b64 v[28:29], v[26:27], off
.LBB21_13:                              ;   in Loop: Header=BB21_3 Depth=1
	s_wait_xcnt 0x0
	s_or_b32 exec_lo, exec_lo, s12
	v_add_nc_u64_e32 v[26:27], 16, v[22:23]
	s_mov_b32 s12, exec_lo
	s_delay_alu instid0(VALU_DEP_1)
	v_cmpx_gt_i64_e64 s[6:7], v[26:27]
	s_cbranch_execz .LBB21_15
; %bb.14:                               ;   in Loop: Header=BB21_3 Depth=1
	ds_load_b64 v[26:27], v25 offset:128
	v_add_nc_u64_e32 v[28:29], v[18:19], v[4:5]
	s_wait_dscnt 0x0
	global_store_b64 v[28:29], v[26:27], off
.LBB21_15:                              ;   in Loop: Header=BB21_3 Depth=1
	s_wait_xcnt 0x0
	s_or_b32 exec_lo, exec_lo, s12
	v_add_nc_u64_e32 v[22:23], 24, v[22:23]
	s_delay_alu instid0(VALU_DEP_1)
	v_cmp_gt_i64_e32 vcc_lo, s[6:7], v[22:23]
	s_and_b32 exec_lo, exec_lo, vcc_lo
	s_cbranch_execz .LBB21_2
; %bb.16:                               ;   in Loop: Header=BB21_3 Depth=1
	ds_load_b64 v[22:23], v25 offset:192
	v_add_nc_u64_e32 v[26:27], v[8:9], v[4:5]
	s_wait_dscnt 0x0
	global_store_b64 v[26:27], v[22:23], off
	s_branch .LBB21_2
.LBB21_17:                              ;   in Loop: Header=BB21_3 Depth=1
	global_load_b64 v[22:23], v[10:11], off
	s_wait_loadcnt 0x0
	ds_store_b64 v24, v[22:23]
	s_wait_xcnt 0x0
	s_or_b32 exec_lo, exec_lo, s5
	s_nor_b32 s12, vcc_lo, s2
	s_delay_alu instid0(SALU_CYCLE_1)
	s_and_saveexec_b32 s5, s12
	s_cbranch_execz .LBB21_5
.LBB21_18:                              ;   in Loop: Header=BB21_3 Depth=1
	global_load_b64 v[22:23], v[12:13], off
	s_wait_loadcnt 0x0
	ds_store_b64 v24, v[22:23] offset:2048
	s_wait_xcnt 0x0
	s_or_b32 exec_lo, exec_lo, s5
	s_nor_b32 s12, vcc_lo, s3
	s_delay_alu instid0(SALU_CYCLE_1)
	s_and_saveexec_b32 s5, s12
	s_cbranch_execz .LBB21_6
.LBB21_19:                              ;   in Loop: Header=BB21_3 Depth=1
	global_load_b64 v[22:23], v[14:15], off
	s_wait_loadcnt 0x0
	ds_store_b64 v24, v[22:23] offset:4096
	s_wait_xcnt 0x0
	s_or_b32 exec_lo, exec_lo, s5
	s_nor_b32 s12, vcc_lo, s4
	s_delay_alu instid0(SALU_CYCLE_1)
	s_and_saveexec_b32 s5, s12
	s_cbranch_execnz .LBB21_7
	s_branch .LBB21_8
.LBB21_20:
	s_endpgm
	.section	.rodata,"a",@progbits
	.p2align	6, 0x0
	.amdhsa_kernel _ZN9rocsparseL27dense_transpose_back_kernelILj32ELj8EldEEvT1_S1_PKT2_lPS2_l
		.amdhsa_group_segment_fixed_size 8192
		.amdhsa_private_segment_fixed_size 0
		.amdhsa_kernarg_size 48
		.amdhsa_user_sgpr_count 2
		.amdhsa_user_sgpr_dispatch_ptr 0
		.amdhsa_user_sgpr_queue_ptr 0
		.amdhsa_user_sgpr_kernarg_segment_ptr 1
		.amdhsa_user_sgpr_dispatch_id 0
		.amdhsa_user_sgpr_kernarg_preload_length 0
		.amdhsa_user_sgpr_kernarg_preload_offset 0
		.amdhsa_user_sgpr_private_segment_size 0
		.amdhsa_wavefront_size32 1
		.amdhsa_uses_dynamic_stack 0
		.amdhsa_enable_private_segment 0
		.amdhsa_system_sgpr_workgroup_id_x 1
		.amdhsa_system_sgpr_workgroup_id_y 0
		.amdhsa_system_sgpr_workgroup_id_z 0
		.amdhsa_system_sgpr_workgroup_info 0
		.amdhsa_system_vgpr_workitem_id 0
		.amdhsa_next_free_vgpr 34
		.amdhsa_next_free_sgpr 16
		.amdhsa_named_barrier_count 0
		.amdhsa_reserve_vcc 1
		.amdhsa_float_round_mode_32 0
		.amdhsa_float_round_mode_16_64 0
		.amdhsa_float_denorm_mode_32 3
		.amdhsa_float_denorm_mode_16_64 3
		.amdhsa_fp16_overflow 0
		.amdhsa_memory_ordered 1
		.amdhsa_forward_progress 1
		.amdhsa_inst_pref_size 8
		.amdhsa_round_robin_scheduling 0
		.amdhsa_exception_fp_ieee_invalid_op 0
		.amdhsa_exception_fp_denorm_src 0
		.amdhsa_exception_fp_ieee_div_zero 0
		.amdhsa_exception_fp_ieee_overflow 0
		.amdhsa_exception_fp_ieee_underflow 0
		.amdhsa_exception_fp_ieee_inexact 0
		.amdhsa_exception_int_div_zero 0
	.end_amdhsa_kernel
	.section	.text._ZN9rocsparseL27dense_transpose_back_kernelILj32ELj8EldEEvT1_S1_PKT2_lPS2_l,"axG",@progbits,_ZN9rocsparseL27dense_transpose_back_kernelILj32ELj8EldEEvT1_S1_PKT2_lPS2_l,comdat
.Lfunc_end21:
	.size	_ZN9rocsparseL27dense_transpose_back_kernelILj32ELj8EldEEvT1_S1_PKT2_lPS2_l, .Lfunc_end21-_ZN9rocsparseL27dense_transpose_back_kernelILj32ELj8EldEEvT1_S1_PKT2_lPS2_l
                                        ; -- End function
	.set _ZN9rocsparseL27dense_transpose_back_kernelILj32ELj8EldEEvT1_S1_PKT2_lPS2_l.num_vgpr, 34
	.set _ZN9rocsparseL27dense_transpose_back_kernelILj32ELj8EldEEvT1_S1_PKT2_lPS2_l.num_agpr, 0
	.set _ZN9rocsparseL27dense_transpose_back_kernelILj32ELj8EldEEvT1_S1_PKT2_lPS2_l.numbered_sgpr, 16
	.set _ZN9rocsparseL27dense_transpose_back_kernelILj32ELj8EldEEvT1_S1_PKT2_lPS2_l.num_named_barrier, 0
	.set _ZN9rocsparseL27dense_transpose_back_kernelILj32ELj8EldEEvT1_S1_PKT2_lPS2_l.private_seg_size, 0
	.set _ZN9rocsparseL27dense_transpose_back_kernelILj32ELj8EldEEvT1_S1_PKT2_lPS2_l.uses_vcc, 1
	.set _ZN9rocsparseL27dense_transpose_back_kernelILj32ELj8EldEEvT1_S1_PKT2_lPS2_l.uses_flat_scratch, 0
	.set _ZN9rocsparseL27dense_transpose_back_kernelILj32ELj8EldEEvT1_S1_PKT2_lPS2_l.has_dyn_sized_stack, 0
	.set _ZN9rocsparseL27dense_transpose_back_kernelILj32ELj8EldEEvT1_S1_PKT2_lPS2_l.has_recursion, 0
	.set _ZN9rocsparseL27dense_transpose_back_kernelILj32ELj8EldEEvT1_S1_PKT2_lPS2_l.has_indirect_call, 0
	.section	.AMDGPU.csdata,"",@progbits
; Kernel info:
; codeLenInByte = 1008
; TotalNumSgprs: 18
; NumVgprs: 34
; ScratchSize: 0
; MemoryBound: 1
; FloatMode: 240
; IeeeMode: 1
; LDSByteSize: 8192 bytes/workgroup (compile time only)
; SGPRBlocks: 0
; VGPRBlocks: 2
; NumSGPRsForWavesPerEU: 18
; NumVGPRsForWavesPerEU: 34
; NamedBarCnt: 0
; Occupancy: 16
; WaveLimiterHint : 0
; COMPUTE_PGM_RSRC2:SCRATCH_EN: 0
; COMPUTE_PGM_RSRC2:USER_SGPR: 2
; COMPUTE_PGM_RSRC2:TRAP_HANDLER: 0
; COMPUTE_PGM_RSRC2:TGID_X_EN: 1
; COMPUTE_PGM_RSRC2:TGID_Y_EN: 0
; COMPUTE_PGM_RSRC2:TGID_Z_EN: 0
; COMPUTE_PGM_RSRC2:TIDIG_COMP_CNT: 0
	.section	.text._ZN9rocsparseL27dense_transpose_back_kernelILj32ELj8El21rocsparse_complex_numIfEEEvT1_S3_PKT2_lPS4_l,"axG",@progbits,_ZN9rocsparseL27dense_transpose_back_kernelILj32ELj8El21rocsparse_complex_numIfEEEvT1_S3_PKT2_lPS4_l,comdat
	.globl	_ZN9rocsparseL27dense_transpose_back_kernelILj32ELj8El21rocsparse_complex_numIfEEEvT1_S3_PKT2_lPS4_l ; -- Begin function _ZN9rocsparseL27dense_transpose_back_kernelILj32ELj8El21rocsparse_complex_numIfEEEvT1_S3_PKT2_lPS4_l
	.p2align	8
	.type	_ZN9rocsparseL27dense_transpose_back_kernelILj32ELj8El21rocsparse_complex_numIfEEEvT1_S3_PKT2_lPS4_l,@function
_ZN9rocsparseL27dense_transpose_back_kernelILj32ELj8El21rocsparse_complex_numIfEEEvT1_S3_PKT2_lPS4_l: ; @_ZN9rocsparseL27dense_transpose_back_kernelILj32ELj8El21rocsparse_complex_numIfEEEvT1_S3_PKT2_lPS4_l
; %bb.0:
	s_load_b256 s[4:11], s[0:1], 0x0
	s_wait_kmcnt 0x0
	v_cmp_lt_i64_e64 s2, s[6:7], 1
	s_and_b32 vcc_lo, exec_lo, s2
	s_cbranch_vccnz .LBB22_20
; %bb.1:
	s_bfe_u32 s2, ttmp6, 0x4000c
	s_load_b128 s[12:15], s[0:1], 0x20
	s_add_co_i32 s2, s2, 1
	s_wait_xcnt 0x0
	s_and_b32 s0, ttmp6, 15
	s_mul_i32 s1, ttmp9, s2
	s_getreg_b32 s2, hwreg(HW_REG_IB_STS2, 6, 4)
	s_add_co_i32 s0, s0, s1
	s_cmp_eq_u32 s2, 0
	v_dual_mov_b32 v5, 0 :: v_dual_lshrrev_b32 v2, 5, v0
	s_cselect_b32 s0, ttmp9, s0
	v_and_b32_e32 v0, 31, v0
	s_lshl_b32 s0, s0, 5
	s_delay_alu instid0(VALU_DEP_2) | instskip(SKIP_2) | instid1(VALU_DEP_2)
	v_dual_mov_b32 v7, v5 :: v_dual_bitop2_b32 v8, 24, v2 bitop3:0x54
	v_dual_mov_b32 v3, v5 :: v_dual_bitop2_b32 v4, s0, v2 bitop3:0x54
	v_dual_mov_b32 v9, v5 :: v_dual_mov_b32 v11, v5
	v_dual_mov_b32 v13, v5 :: v_dual_bitop2_b32 v12, 24, v4 bitop3:0x54
	v_or_b32_e32 v6, 8, v4
	v_or_b32_e32 v10, 16, v4
	s_wait_kmcnt 0x0
	v_mul_u64_e32 v[14:15], s[14:15], v[2:3]
	v_mul_u64_e32 v[18:19], s[10:11], v[4:5]
	v_mul_u64_e32 v[26:27], s[10:11], v[12:13]
	v_mul_u64_e32 v[20:21], s[10:11], v[6:7]
	v_mul_u64_e32 v[22:23], s[10:11], v[10:11]
	v_dual_mov_b32 v17, v5 :: v_dual_bitop2_b32 v16, 16, v2 bitop3:0x54
	v_dual_mov_b32 v25, v5 :: v_dual_bitop2_b32 v24, 8, v2 bitop3:0x54
	v_mul_u64_e32 v[8:9], s[14:15], v[8:9]
	v_dual_mov_b32 v1, v5 :: v_dual_mov_b32 v33, v5
	s_delay_alu instid0(VALU_DEP_4) | instskip(NEXT) | instid1(VALU_DEP_4)
	v_mul_u64_e32 v[28:29], s[14:15], v[16:17]
	v_mul_u64_e32 v[30:31], s[14:15], v[24:25]
	v_dual_lshlrev_b32 v25, 3, v2 :: v_dual_lshlrev_b32 v32, 3, v0
	v_or_b32_e32 v16, s0, v0
	v_cmp_le_i64_e64 s1, s[4:5], v[4:5]
	v_cmp_le_i64_e64 s2, s[4:5], v[6:7]
	;; [unrolled: 1-line block ×3, first 2 shown]
	v_lshl_or_b32 v24, v2, 8, v32
	v_cmp_gt_i64_e64 s0, s[4:5], v[16:17]
	v_lshlrev_b64_e32 v[4:5], 3, v[16:17]
	v_cmp_le_i64_e64 s4, s[4:5], v[12:13]
	v_lshl_or_b32 v25, v0, 8, v25
	s_mov_b64 s[10:11], 0
	v_lshl_add_u64 v[6:7], v[14:15], 3, s[12:13]
	v_lshl_add_u64 v[10:11], v[18:19], 3, v[32:33]
	;; [unrolled: 1-line block ×5, first 2 shown]
	s_delay_alu instid0(VALU_DEP_4) | instskip(NEXT) | instid1(VALU_DEP_4)
	v_add_nc_u64_e32 v[10:11], s[8:9], v[10:11]
	v_add_nc_u64_e32 v[16:17], s[8:9], v[16:17]
	s_delay_alu instid0(VALU_DEP_4) | instskip(NEXT) | instid1(VALU_DEP_4)
	v_add_nc_u64_e32 v[12:13], s[8:9], v[12:13]
	v_add_nc_u64_e32 v[14:15], s[8:9], v[14:15]
	v_lshl_add_u64 v[8:9], v[8:9], 3, s[12:13]
	s_lshl_b64 s[8:9], s[14:15], 8
	v_lshl_add_u64 v[18:19], v[28:29], 3, s[12:13]
	v_lshl_add_u64 v[20:21], v[30:31], 3, s[12:13]
	s_branch .LBB22_3
.LBB22_2:                               ;   in Loop: Header=BB22_3 Depth=1
	s_wait_xcnt 0x0
	s_or_b32 exec_lo, exec_lo, s5
	s_add_nc_u64 s[10:11], s[10:11], 32
	v_add_nc_u64_e32 v[6:7], s[8:9], v[6:7]
	v_cmp_lt_i64_e64 s5, s[10:11], s[6:7]
	v_add_nc_u64_e32 v[8:9], s[8:9], v[8:9]
	v_add_nc_u64_e32 v[18:19], s[8:9], v[18:19]
	;; [unrolled: 1-line block ×7, first 2 shown]
	s_and_b32 vcc_lo, exec_lo, s5
	s_cbranch_vccz .LBB22_20
.LBB22_3:                               ; =>This Inner Loop Header: Depth=1
	v_add_nc_u64_e32 v[22:23], s[10:11], v[0:1]
	s_barrier_signal -1
	s_barrier_wait -1
	s_delay_alu instid0(VALU_DEP_1) | instskip(SKIP_1) | instid1(SALU_CYCLE_1)
	v_cmp_le_i64_e32 vcc_lo, s[6:7], v[22:23]
	s_nor_b32 s12, vcc_lo, s1
	s_and_saveexec_b32 s5, s12
	s_cbranch_execnz .LBB22_17
; %bb.4:                                ;   in Loop: Header=BB22_3 Depth=1
	s_or_b32 exec_lo, exec_lo, s5
	s_nor_b32 s12, vcc_lo, s2
	s_delay_alu instid0(SALU_CYCLE_1)
	s_and_saveexec_b32 s5, s12
	s_cbranch_execnz .LBB22_18
.LBB22_5:                               ;   in Loop: Header=BB22_3 Depth=1
	s_or_b32 exec_lo, exec_lo, s5
	s_nor_b32 s12, vcc_lo, s3
	s_delay_alu instid0(SALU_CYCLE_1)
	s_and_saveexec_b32 s5, s12
	s_cbranch_execnz .LBB22_19
.LBB22_6:                               ;   in Loop: Header=BB22_3 Depth=1
	s_or_b32 exec_lo, exec_lo, s5
	s_nor_b32 s12, vcc_lo, s4
	s_delay_alu instid0(SALU_CYCLE_1)
	s_and_saveexec_b32 s5, s12
	s_cbranch_execz .LBB22_8
.LBB22_7:                               ;   in Loop: Header=BB22_3 Depth=1
	global_load_b64 v[22:23], v[16:17], off
	s_wait_loadcnt 0x0
	ds_store_b64 v24, v[22:23] offset:6144
.LBB22_8:                               ;   in Loop: Header=BB22_3 Depth=1
	s_wait_xcnt 0x0
	s_or_b32 exec_lo, exec_lo, s5
	v_add_nc_u64_e32 v[22:23], s[10:11], v[2:3]
	s_wait_dscnt 0x0
	s_barrier_signal -1
	s_barrier_wait -1
	s_delay_alu instid0(VALU_DEP_1) | instskip(SKIP_1) | instid1(SALU_CYCLE_1)
	v_cmp_gt_i64_e32 vcc_lo, s[6:7], v[22:23]
	s_and_b32 s12, s0, vcc_lo
	s_and_saveexec_b32 s5, s12
	s_cbranch_execz .LBB22_10
; %bb.9:                                ;   in Loop: Header=BB22_3 Depth=1
	ds_load_b64 v[26:27], v25
	v_add_nc_u64_e32 v[28:29], v[6:7], v[4:5]
	s_wait_dscnt 0x0
	global_store_b64 v[28:29], v[26:27], off
.LBB22_10:                              ;   in Loop: Header=BB22_3 Depth=1
	s_wait_xcnt 0x0
	s_or_b32 exec_lo, exec_lo, s5
	s_and_saveexec_b32 s5, s0
	s_cbranch_execz .LBB22_2
; %bb.11:                               ;   in Loop: Header=BB22_3 Depth=1
	v_add_nc_u64_e32 v[26:27], 8, v[22:23]
	s_mov_b32 s12, exec_lo
	s_delay_alu instid0(VALU_DEP_1)
	v_cmpx_gt_i64_e64 s[6:7], v[26:27]
	s_cbranch_execz .LBB22_13
; %bb.12:                               ;   in Loop: Header=BB22_3 Depth=1
	ds_load_b64 v[26:27], v25 offset:64
	v_add_nc_u64_e32 v[28:29], v[20:21], v[4:5]
	s_wait_dscnt 0x0
	global_store_b64 v[28:29], v[26:27], off
.LBB22_13:                              ;   in Loop: Header=BB22_3 Depth=1
	s_wait_xcnt 0x0
	s_or_b32 exec_lo, exec_lo, s12
	v_add_nc_u64_e32 v[26:27], 16, v[22:23]
	s_mov_b32 s12, exec_lo
	s_delay_alu instid0(VALU_DEP_1)
	v_cmpx_gt_i64_e64 s[6:7], v[26:27]
	s_cbranch_execz .LBB22_15
; %bb.14:                               ;   in Loop: Header=BB22_3 Depth=1
	ds_load_b64 v[26:27], v25 offset:128
	v_add_nc_u64_e32 v[28:29], v[18:19], v[4:5]
	s_wait_dscnt 0x0
	global_store_b64 v[28:29], v[26:27], off
.LBB22_15:                              ;   in Loop: Header=BB22_3 Depth=1
	s_wait_xcnt 0x0
	s_or_b32 exec_lo, exec_lo, s12
	v_add_nc_u64_e32 v[22:23], 24, v[22:23]
	s_delay_alu instid0(VALU_DEP_1)
	v_cmp_gt_i64_e32 vcc_lo, s[6:7], v[22:23]
	s_and_b32 exec_lo, exec_lo, vcc_lo
	s_cbranch_execz .LBB22_2
; %bb.16:                               ;   in Loop: Header=BB22_3 Depth=1
	ds_load_b64 v[22:23], v25 offset:192
	v_add_nc_u64_e32 v[26:27], v[8:9], v[4:5]
	s_wait_dscnt 0x0
	global_store_b64 v[26:27], v[22:23], off
	s_branch .LBB22_2
.LBB22_17:                              ;   in Loop: Header=BB22_3 Depth=1
	global_load_b64 v[22:23], v[10:11], off
	s_wait_loadcnt 0x0
	ds_store_b64 v24, v[22:23]
	s_wait_xcnt 0x0
	s_or_b32 exec_lo, exec_lo, s5
	s_nor_b32 s12, vcc_lo, s2
	s_delay_alu instid0(SALU_CYCLE_1)
	s_and_saveexec_b32 s5, s12
	s_cbranch_execz .LBB22_5
.LBB22_18:                              ;   in Loop: Header=BB22_3 Depth=1
	global_load_b64 v[22:23], v[12:13], off
	s_wait_loadcnt 0x0
	ds_store_b64 v24, v[22:23] offset:2048
	s_wait_xcnt 0x0
	s_or_b32 exec_lo, exec_lo, s5
	s_nor_b32 s12, vcc_lo, s3
	s_delay_alu instid0(SALU_CYCLE_1)
	s_and_saveexec_b32 s5, s12
	s_cbranch_execz .LBB22_6
.LBB22_19:                              ;   in Loop: Header=BB22_3 Depth=1
	global_load_b64 v[22:23], v[14:15], off
	s_wait_loadcnt 0x0
	ds_store_b64 v24, v[22:23] offset:4096
	s_wait_xcnt 0x0
	s_or_b32 exec_lo, exec_lo, s5
	s_nor_b32 s12, vcc_lo, s4
	s_delay_alu instid0(SALU_CYCLE_1)
	s_and_saveexec_b32 s5, s12
	s_cbranch_execnz .LBB22_7
	s_branch .LBB22_8
.LBB22_20:
	s_endpgm
	.section	.rodata,"a",@progbits
	.p2align	6, 0x0
	.amdhsa_kernel _ZN9rocsparseL27dense_transpose_back_kernelILj32ELj8El21rocsparse_complex_numIfEEEvT1_S3_PKT2_lPS4_l
		.amdhsa_group_segment_fixed_size 8192
		.amdhsa_private_segment_fixed_size 0
		.amdhsa_kernarg_size 48
		.amdhsa_user_sgpr_count 2
		.amdhsa_user_sgpr_dispatch_ptr 0
		.amdhsa_user_sgpr_queue_ptr 0
		.amdhsa_user_sgpr_kernarg_segment_ptr 1
		.amdhsa_user_sgpr_dispatch_id 0
		.amdhsa_user_sgpr_kernarg_preload_length 0
		.amdhsa_user_sgpr_kernarg_preload_offset 0
		.amdhsa_user_sgpr_private_segment_size 0
		.amdhsa_wavefront_size32 1
		.amdhsa_uses_dynamic_stack 0
		.amdhsa_enable_private_segment 0
		.amdhsa_system_sgpr_workgroup_id_x 1
		.amdhsa_system_sgpr_workgroup_id_y 0
		.amdhsa_system_sgpr_workgroup_id_z 0
		.amdhsa_system_sgpr_workgroup_info 0
		.amdhsa_system_vgpr_workitem_id 0
		.amdhsa_next_free_vgpr 34
		.amdhsa_next_free_sgpr 16
		.amdhsa_named_barrier_count 0
		.amdhsa_reserve_vcc 1
		.amdhsa_float_round_mode_32 0
		.amdhsa_float_round_mode_16_64 0
		.amdhsa_float_denorm_mode_32 3
		.amdhsa_float_denorm_mode_16_64 3
		.amdhsa_fp16_overflow 0
		.amdhsa_memory_ordered 1
		.amdhsa_forward_progress 1
		.amdhsa_inst_pref_size 8
		.amdhsa_round_robin_scheduling 0
		.amdhsa_exception_fp_ieee_invalid_op 0
		.amdhsa_exception_fp_denorm_src 0
		.amdhsa_exception_fp_ieee_div_zero 0
		.amdhsa_exception_fp_ieee_overflow 0
		.amdhsa_exception_fp_ieee_underflow 0
		.amdhsa_exception_fp_ieee_inexact 0
		.amdhsa_exception_int_div_zero 0
	.end_amdhsa_kernel
	.section	.text._ZN9rocsparseL27dense_transpose_back_kernelILj32ELj8El21rocsparse_complex_numIfEEEvT1_S3_PKT2_lPS4_l,"axG",@progbits,_ZN9rocsparseL27dense_transpose_back_kernelILj32ELj8El21rocsparse_complex_numIfEEEvT1_S3_PKT2_lPS4_l,comdat
.Lfunc_end22:
	.size	_ZN9rocsparseL27dense_transpose_back_kernelILj32ELj8El21rocsparse_complex_numIfEEEvT1_S3_PKT2_lPS4_l, .Lfunc_end22-_ZN9rocsparseL27dense_transpose_back_kernelILj32ELj8El21rocsparse_complex_numIfEEEvT1_S3_PKT2_lPS4_l
                                        ; -- End function
	.set _ZN9rocsparseL27dense_transpose_back_kernelILj32ELj8El21rocsparse_complex_numIfEEEvT1_S3_PKT2_lPS4_l.num_vgpr, 34
	.set _ZN9rocsparseL27dense_transpose_back_kernelILj32ELj8El21rocsparse_complex_numIfEEEvT1_S3_PKT2_lPS4_l.num_agpr, 0
	.set _ZN9rocsparseL27dense_transpose_back_kernelILj32ELj8El21rocsparse_complex_numIfEEEvT1_S3_PKT2_lPS4_l.numbered_sgpr, 16
	.set _ZN9rocsparseL27dense_transpose_back_kernelILj32ELj8El21rocsparse_complex_numIfEEEvT1_S3_PKT2_lPS4_l.num_named_barrier, 0
	.set _ZN9rocsparseL27dense_transpose_back_kernelILj32ELj8El21rocsparse_complex_numIfEEEvT1_S3_PKT2_lPS4_l.private_seg_size, 0
	.set _ZN9rocsparseL27dense_transpose_back_kernelILj32ELj8El21rocsparse_complex_numIfEEEvT1_S3_PKT2_lPS4_l.uses_vcc, 1
	.set _ZN9rocsparseL27dense_transpose_back_kernelILj32ELj8El21rocsparse_complex_numIfEEEvT1_S3_PKT2_lPS4_l.uses_flat_scratch, 0
	.set _ZN9rocsparseL27dense_transpose_back_kernelILj32ELj8El21rocsparse_complex_numIfEEEvT1_S3_PKT2_lPS4_l.has_dyn_sized_stack, 0
	.set _ZN9rocsparseL27dense_transpose_back_kernelILj32ELj8El21rocsparse_complex_numIfEEEvT1_S3_PKT2_lPS4_l.has_recursion, 0
	.set _ZN9rocsparseL27dense_transpose_back_kernelILj32ELj8El21rocsparse_complex_numIfEEEvT1_S3_PKT2_lPS4_l.has_indirect_call, 0
	.section	.AMDGPU.csdata,"",@progbits
; Kernel info:
; codeLenInByte = 1008
; TotalNumSgprs: 18
; NumVgprs: 34
; ScratchSize: 0
; MemoryBound: 1
; FloatMode: 240
; IeeeMode: 1
; LDSByteSize: 8192 bytes/workgroup (compile time only)
; SGPRBlocks: 0
; VGPRBlocks: 2
; NumSGPRsForWavesPerEU: 18
; NumVGPRsForWavesPerEU: 34
; NamedBarCnt: 0
; Occupancy: 16
; WaveLimiterHint : 0
; COMPUTE_PGM_RSRC2:SCRATCH_EN: 0
; COMPUTE_PGM_RSRC2:USER_SGPR: 2
; COMPUTE_PGM_RSRC2:TRAP_HANDLER: 0
; COMPUTE_PGM_RSRC2:TGID_X_EN: 1
; COMPUTE_PGM_RSRC2:TGID_Y_EN: 0
; COMPUTE_PGM_RSRC2:TGID_Z_EN: 0
; COMPUTE_PGM_RSRC2:TIDIG_COMP_CNT: 0
	.section	.text._ZN9rocsparseL27dense_transpose_back_kernelILj32ELj8El21rocsparse_complex_numIdEEEvT1_S3_PKT2_lPS4_l,"axG",@progbits,_ZN9rocsparseL27dense_transpose_back_kernelILj32ELj8El21rocsparse_complex_numIdEEEvT1_S3_PKT2_lPS4_l,comdat
	.globl	_ZN9rocsparseL27dense_transpose_back_kernelILj32ELj8El21rocsparse_complex_numIdEEEvT1_S3_PKT2_lPS4_l ; -- Begin function _ZN9rocsparseL27dense_transpose_back_kernelILj32ELj8El21rocsparse_complex_numIdEEEvT1_S3_PKT2_lPS4_l
	.p2align	8
	.type	_ZN9rocsparseL27dense_transpose_back_kernelILj32ELj8El21rocsparse_complex_numIdEEEvT1_S3_PKT2_lPS4_l,@function
_ZN9rocsparseL27dense_transpose_back_kernelILj32ELj8El21rocsparse_complex_numIdEEEvT1_S3_PKT2_lPS4_l: ; @_ZN9rocsparseL27dense_transpose_back_kernelILj32ELj8El21rocsparse_complex_numIdEEEvT1_S3_PKT2_lPS4_l
; %bb.0:
	s_load_b256 s[4:11], s[0:1], 0x0
	s_wait_kmcnt 0x0
	v_cmp_lt_i64_e64 s2, s[6:7], 1
	s_and_b32 vcc_lo, exec_lo, s2
	s_cbranch_vccnz .LBB23_20
; %bb.1:
	s_bfe_u32 s2, ttmp6, 0x4000c
	s_load_b128 s[12:15], s[0:1], 0x20
	s_add_co_i32 s2, s2, 1
	s_wait_xcnt 0x0
	s_and_b32 s0, ttmp6, 15
	s_mul_i32 s1, ttmp9, s2
	s_getreg_b32 s2, hwreg(HW_REG_IB_STS2, 6, 4)
	s_add_co_i32 s0, s0, s1
	s_cmp_eq_u32 s2, 0
	v_dual_mov_b32 v5, 0 :: v_dual_lshrrev_b32 v2, 5, v0
	s_cselect_b32 s0, ttmp9, s0
	v_and_b32_e32 v0, 31, v0
	s_lshl_b32 s0, s0, 5
	s_delay_alu instid0(VALU_DEP_2) | instskip(SKIP_2) | instid1(VALU_DEP_2)
	v_dual_mov_b32 v9, v5 :: v_dual_bitop2_b32 v8, 24, v2 bitop3:0x54
	v_dual_mov_b32 v3, v5 :: v_dual_bitop2_b32 v4, s0, v2 bitop3:0x54
	v_dual_mov_b32 v7, v5 :: v_dual_mov_b32 v11, v5
	v_dual_mov_b32 v13, v5 :: v_dual_bitop2_b32 v10, 16, v4 bitop3:0x54
	v_or_b32_e32 v6, 8, v4
	v_dual_mov_b32 v17, v5 :: v_dual_bitop2_b32 v12, 24, v4 bitop3:0x54
	s_wait_kmcnt 0x0
	v_mul_u64_e32 v[14:15], s[14:15], v[2:3]
	v_mul_u64_e32 v[18:19], s[10:11], v[4:5]
	;; [unrolled: 1-line block ×5, first 2 shown]
	v_dual_mov_b32 v25, v5 :: v_dual_bitop2_b32 v16, 16, v2 bitop3:0x54
	v_or_b32_e32 v24, 8, v2
	v_mul_u64_e32 v[8:9], s[14:15], v[8:9]
	v_dual_mov_b32 v35, v5 :: v_dual_bitop2_b32 v34, s0, v0 bitop3:0x54
	s_delay_alu instid0(VALU_DEP_4) | instskip(SKIP_4) | instid1(VALU_DEP_4)
	v_mul_u64_e32 v[36:37], s[14:15], v[16:17]
	v_lshlrev_b32_e32 v16, 4, v0
	v_mul_u64_e32 v[38:39], s[14:15], v[24:25]
	v_dual_lshlrev_b32 v17, 4, v2 :: v_dual_mov_b32 v1, v5
	v_cmp_gt_i64_e64 s0, s[4:5], v[34:35]
	v_lshl_or_b32 v24, v2, 9, v16
	v_cmp_le_i64_e64 s1, s[4:5], v[4:5]
	s_delay_alu instid0(VALU_DEP_4)
	v_lshl_or_b32 v25, v0, 9, v17
	v_mov_b32_e32 v17, v5
	v_cmp_le_i64_e64 s2, s[4:5], v[6:7]
	v_cmp_le_i64_e64 s3, s[4:5], v[10:11]
	;; [unrolled: 1-line block ×3, first 2 shown]
	v_lshlrev_b64_e32 v[4:5], 4, v[34:35]
	v_or_b32_e32 v26, 0x1000, v24
	v_or_b32_e32 v27, 0x2000, v24
	;; [unrolled: 1-line block ×6, first 2 shown]
	s_mov_b64 s[10:11], 0
	v_lshl_add_u64 v[6:7], v[14:15], 4, s[12:13]
	v_lshl_add_u64 v[10:11], v[18:19], 4, v[16:17]
	;; [unrolled: 1-line block ×5, first 2 shown]
	s_delay_alu instid0(VALU_DEP_4) | instskip(NEXT) | instid1(VALU_DEP_4)
	v_add_nc_u64_e32 v[10:11], s[8:9], v[10:11]
	v_add_nc_u64_e32 v[12:13], s[8:9], v[12:13]
	s_delay_alu instid0(VALU_DEP_4) | instskip(NEXT) | instid1(VALU_DEP_4)
	v_add_nc_u64_e32 v[14:15], s[8:9], v[14:15]
	v_add_nc_u64_e32 v[16:17], s[8:9], v[16:17]
	v_lshl_add_u64 v[8:9], v[8:9], 4, s[12:13]
	v_lshl_add_u64 v[18:19], v[36:37], 4, s[12:13]
	s_lshl_b64 s[8:9], s[14:15], 9
	v_lshl_add_u64 v[20:21], v[38:39], 4, s[12:13]
	s_branch .LBB23_3
.LBB23_2:                               ;   in Loop: Header=BB23_3 Depth=1
	s_wait_xcnt 0x0
	s_or_b32 exec_lo, exec_lo, s5
	s_add_nc_u64 s[10:11], s[10:11], 32
	v_add_nc_u64_e32 v[6:7], s[8:9], v[6:7]
	v_cmp_lt_i64_e64 s5, s[10:11], s[6:7]
	v_add_nc_u64_e32 v[8:9], s[8:9], v[8:9]
	v_add_nc_u64_e32 v[18:19], s[8:9], v[18:19]
	;; [unrolled: 1-line block ×7, first 2 shown]
	s_and_b32 vcc_lo, exec_lo, s5
	s_cbranch_vccz .LBB23_20
.LBB23_3:                               ; =>This Inner Loop Header: Depth=1
	v_add_nc_u64_e32 v[22:23], s[10:11], v[0:1]
	s_barrier_signal -1
	s_barrier_wait -1
	s_delay_alu instid0(VALU_DEP_1) | instskip(SKIP_1) | instid1(SALU_CYCLE_1)
	v_cmp_le_i64_e32 vcc_lo, s[6:7], v[22:23]
	s_nor_b32 s12, vcc_lo, s1
	s_and_saveexec_b32 s5, s12
	s_cbranch_execnz .LBB23_17
; %bb.4:                                ;   in Loop: Header=BB23_3 Depth=1
	s_or_b32 exec_lo, exec_lo, s5
	s_nor_b32 s12, vcc_lo, s2
	s_delay_alu instid0(SALU_CYCLE_1)
	s_and_saveexec_b32 s5, s12
	s_cbranch_execnz .LBB23_18
.LBB23_5:                               ;   in Loop: Header=BB23_3 Depth=1
	s_or_b32 exec_lo, exec_lo, s5
	s_nor_b32 s12, vcc_lo, s3
	s_delay_alu instid0(SALU_CYCLE_1)
	s_and_saveexec_b32 s5, s12
	s_cbranch_execnz .LBB23_19
.LBB23_6:                               ;   in Loop: Header=BB23_3 Depth=1
	s_or_b32 exec_lo, exec_lo, s5
	s_nor_b32 s12, vcc_lo, s4
	s_delay_alu instid0(SALU_CYCLE_1)
	s_and_saveexec_b32 s5, s12
	s_cbranch_execz .LBB23_8
.LBB23_7:                               ;   in Loop: Header=BB23_3 Depth=1
	global_load_b128 v[32:35], v[16:17], off
	s_wait_loadcnt 0x0
	ds_store_2addr_b64 v28, v[32:33], v[34:35] offset1:1
.LBB23_8:                               ;   in Loop: Header=BB23_3 Depth=1
	s_wait_xcnt 0x0
	s_or_b32 exec_lo, exec_lo, s5
	v_add_nc_u64_e32 v[22:23], s[10:11], v[2:3]
	s_wait_dscnt 0x0
	s_barrier_signal -1
	s_barrier_wait -1
	s_delay_alu instid0(VALU_DEP_1) | instskip(SKIP_1) | instid1(SALU_CYCLE_1)
	v_cmp_gt_i64_e32 vcc_lo, s[6:7], v[22:23]
	s_and_b32 s12, s0, vcc_lo
	s_and_saveexec_b32 s5, s12
	s_cbranch_execz .LBB23_10
; %bb.9:                                ;   in Loop: Header=BB23_3 Depth=1
	ds_load_2addr_b64 v[32:35], v25 offset1:1
	v_add_nc_u64_e32 v[36:37], v[6:7], v[4:5]
	s_wait_dscnt 0x0
	global_store_b128 v[36:37], v[32:35], off
.LBB23_10:                              ;   in Loop: Header=BB23_3 Depth=1
	s_wait_xcnt 0x0
	s_or_b32 exec_lo, exec_lo, s5
	s_and_saveexec_b32 s5, s0
	s_cbranch_execz .LBB23_2
; %bb.11:                               ;   in Loop: Header=BB23_3 Depth=1
	v_add_nc_u64_e32 v[32:33], 8, v[22:23]
	s_mov_b32 s12, exec_lo
	s_delay_alu instid0(VALU_DEP_1)
	v_cmpx_gt_i64_e64 s[6:7], v[32:33]
	s_cbranch_execz .LBB23_13
; %bb.12:                               ;   in Loop: Header=BB23_3 Depth=1
	ds_load_2addr_b64 v[32:35], v29 offset1:1
	v_add_nc_u64_e32 v[36:37], v[20:21], v[4:5]
	s_wait_dscnt 0x0
	global_store_b128 v[36:37], v[32:35], off
.LBB23_13:                              ;   in Loop: Header=BB23_3 Depth=1
	s_wait_xcnt 0x0
	s_or_b32 exec_lo, exec_lo, s12
	v_add_nc_u64_e32 v[32:33], 16, v[22:23]
	s_mov_b32 s12, exec_lo
	s_delay_alu instid0(VALU_DEP_1)
	v_cmpx_gt_i64_e64 s[6:7], v[32:33]
	s_cbranch_execz .LBB23_15
; %bb.14:                               ;   in Loop: Header=BB23_3 Depth=1
	ds_load_2addr_b64 v[32:35], v30 offset1:1
	v_add_nc_u64_e32 v[36:37], v[18:19], v[4:5]
	s_wait_dscnt 0x0
	global_store_b128 v[36:37], v[32:35], off
.LBB23_15:                              ;   in Loop: Header=BB23_3 Depth=1
	s_wait_xcnt 0x0
	s_or_b32 exec_lo, exec_lo, s12
	v_add_nc_u64_e32 v[22:23], 24, v[22:23]
	s_delay_alu instid0(VALU_DEP_1)
	v_cmp_gt_i64_e32 vcc_lo, s[6:7], v[22:23]
	s_and_b32 exec_lo, exec_lo, vcc_lo
	s_cbranch_execz .LBB23_2
; %bb.16:                               ;   in Loop: Header=BB23_3 Depth=1
	ds_load_2addr_b64 v[32:35], v31 offset1:1
	v_add_nc_u64_e32 v[22:23], v[8:9], v[4:5]
	s_wait_dscnt 0x0
	global_store_b128 v[22:23], v[32:35], off
	s_branch .LBB23_2
.LBB23_17:                              ;   in Loop: Header=BB23_3 Depth=1
	global_load_b128 v[32:35], v[10:11], off
	s_wait_loadcnt 0x0
	ds_store_2addr_b64 v24, v[32:33], v[34:35] offset1:1
	s_wait_xcnt 0x0
	s_or_b32 exec_lo, exec_lo, s5
	s_nor_b32 s12, vcc_lo, s2
	s_delay_alu instid0(SALU_CYCLE_1)
	s_and_saveexec_b32 s5, s12
	s_cbranch_execz .LBB23_5
.LBB23_18:                              ;   in Loop: Header=BB23_3 Depth=1
	global_load_b128 v[32:35], v[12:13], off
	s_wait_loadcnt 0x0
	ds_store_2addr_b64 v26, v[32:33], v[34:35] offset1:1
	s_wait_xcnt 0x0
	s_or_b32 exec_lo, exec_lo, s5
	s_nor_b32 s12, vcc_lo, s3
	s_delay_alu instid0(SALU_CYCLE_1)
	s_and_saveexec_b32 s5, s12
	s_cbranch_execz .LBB23_6
.LBB23_19:                              ;   in Loop: Header=BB23_3 Depth=1
	global_load_b128 v[32:35], v[14:15], off
	s_wait_loadcnt 0x0
	ds_store_2addr_b64 v27, v[32:33], v[34:35] offset1:1
	s_wait_xcnt 0x0
	s_or_b32 exec_lo, exec_lo, s5
	s_nor_b32 s12, vcc_lo, s4
	s_delay_alu instid0(SALU_CYCLE_1)
	s_and_saveexec_b32 s5, s12
	s_cbranch_execnz .LBB23_7
	s_branch .LBB23_8
.LBB23_20:
	s_endpgm
	.section	.rodata,"a",@progbits
	.p2align	6, 0x0
	.amdhsa_kernel _ZN9rocsparseL27dense_transpose_back_kernelILj32ELj8El21rocsparse_complex_numIdEEEvT1_S3_PKT2_lPS4_l
		.amdhsa_group_segment_fixed_size 16384
		.amdhsa_private_segment_fixed_size 0
		.amdhsa_kernarg_size 48
		.amdhsa_user_sgpr_count 2
		.amdhsa_user_sgpr_dispatch_ptr 0
		.amdhsa_user_sgpr_queue_ptr 0
		.amdhsa_user_sgpr_kernarg_segment_ptr 1
		.amdhsa_user_sgpr_dispatch_id 0
		.amdhsa_user_sgpr_kernarg_preload_length 0
		.amdhsa_user_sgpr_kernarg_preload_offset 0
		.amdhsa_user_sgpr_private_segment_size 0
		.amdhsa_wavefront_size32 1
		.amdhsa_uses_dynamic_stack 0
		.amdhsa_enable_private_segment 0
		.amdhsa_system_sgpr_workgroup_id_x 1
		.amdhsa_system_sgpr_workgroup_id_y 0
		.amdhsa_system_sgpr_workgroup_id_z 0
		.amdhsa_system_sgpr_workgroup_info 0
		.amdhsa_system_vgpr_workitem_id 0
		.amdhsa_next_free_vgpr 40
		.amdhsa_next_free_sgpr 16
		.amdhsa_named_barrier_count 0
		.amdhsa_reserve_vcc 1
		.amdhsa_float_round_mode_32 0
		.amdhsa_float_round_mode_16_64 0
		.amdhsa_float_denorm_mode_32 3
		.amdhsa_float_denorm_mode_16_64 3
		.amdhsa_fp16_overflow 0
		.amdhsa_memory_ordered 1
		.amdhsa_forward_progress 1
		.amdhsa_inst_pref_size 9
		.amdhsa_round_robin_scheduling 0
		.amdhsa_exception_fp_ieee_invalid_op 0
		.amdhsa_exception_fp_denorm_src 0
		.amdhsa_exception_fp_ieee_div_zero 0
		.amdhsa_exception_fp_ieee_overflow 0
		.amdhsa_exception_fp_ieee_underflow 0
		.amdhsa_exception_fp_ieee_inexact 0
		.amdhsa_exception_int_div_zero 0
	.end_amdhsa_kernel
	.section	.text._ZN9rocsparseL27dense_transpose_back_kernelILj32ELj8El21rocsparse_complex_numIdEEEvT1_S3_PKT2_lPS4_l,"axG",@progbits,_ZN9rocsparseL27dense_transpose_back_kernelILj32ELj8El21rocsparse_complex_numIdEEEvT1_S3_PKT2_lPS4_l,comdat
.Lfunc_end23:
	.size	_ZN9rocsparseL27dense_transpose_back_kernelILj32ELj8El21rocsparse_complex_numIdEEEvT1_S3_PKT2_lPS4_l, .Lfunc_end23-_ZN9rocsparseL27dense_transpose_back_kernelILj32ELj8El21rocsparse_complex_numIdEEEvT1_S3_PKT2_lPS4_l
                                        ; -- End function
	.set _ZN9rocsparseL27dense_transpose_back_kernelILj32ELj8El21rocsparse_complex_numIdEEEvT1_S3_PKT2_lPS4_l.num_vgpr, 40
	.set _ZN9rocsparseL27dense_transpose_back_kernelILj32ELj8El21rocsparse_complex_numIdEEEvT1_S3_PKT2_lPS4_l.num_agpr, 0
	.set _ZN9rocsparseL27dense_transpose_back_kernelILj32ELj8El21rocsparse_complex_numIdEEEvT1_S3_PKT2_lPS4_l.numbered_sgpr, 16
	.set _ZN9rocsparseL27dense_transpose_back_kernelILj32ELj8El21rocsparse_complex_numIdEEEvT1_S3_PKT2_lPS4_l.num_named_barrier, 0
	.set _ZN9rocsparseL27dense_transpose_back_kernelILj32ELj8El21rocsparse_complex_numIdEEEvT1_S3_PKT2_lPS4_l.private_seg_size, 0
	.set _ZN9rocsparseL27dense_transpose_back_kernelILj32ELj8El21rocsparse_complex_numIdEEEvT1_S3_PKT2_lPS4_l.uses_vcc, 1
	.set _ZN9rocsparseL27dense_transpose_back_kernelILj32ELj8El21rocsparse_complex_numIdEEEvT1_S3_PKT2_lPS4_l.uses_flat_scratch, 0
	.set _ZN9rocsparseL27dense_transpose_back_kernelILj32ELj8El21rocsparse_complex_numIdEEEvT1_S3_PKT2_lPS4_l.has_dyn_sized_stack, 0
	.set _ZN9rocsparseL27dense_transpose_back_kernelILj32ELj8El21rocsparse_complex_numIdEEEvT1_S3_PKT2_lPS4_l.has_recursion, 0
	.set _ZN9rocsparseL27dense_transpose_back_kernelILj32ELj8El21rocsparse_complex_numIdEEEvT1_S3_PKT2_lPS4_l.has_indirect_call, 0
	.section	.AMDGPU.csdata,"",@progbits
; Kernel info:
; codeLenInByte = 1064
; TotalNumSgprs: 18
; NumVgprs: 40
; ScratchSize: 0
; MemoryBound: 0
; FloatMode: 240
; IeeeMode: 1
; LDSByteSize: 16384 bytes/workgroup (compile time only)
; SGPRBlocks: 0
; VGPRBlocks: 2
; NumSGPRsForWavesPerEU: 18
; NumVGPRsForWavesPerEU: 40
; NamedBarCnt: 0
; Occupancy: 16
; WaveLimiterHint : 0
; COMPUTE_PGM_RSRC2:SCRATCH_EN: 0
; COMPUTE_PGM_RSRC2:USER_SGPR: 2
; COMPUTE_PGM_RSRC2:TRAP_HANDLER: 0
; COMPUTE_PGM_RSRC2:TGID_X_EN: 1
; COMPUTE_PGM_RSRC2:TGID_Y_EN: 0
; COMPUTE_PGM_RSRC2:TGID_Z_EN: 0
; COMPUTE_PGM_RSRC2:TIDIG_COMP_CNT: 0
	.section	.text._ZN9rocsparseL16conjugate_kernelILj256EifEEvT0_PT1_,"axG",@progbits,_ZN9rocsparseL16conjugate_kernelILj256EifEEvT0_PT1_,comdat
	.globl	_ZN9rocsparseL16conjugate_kernelILj256EifEEvT0_PT1_ ; -- Begin function _ZN9rocsparseL16conjugate_kernelILj256EifEEvT0_PT1_
	.p2align	8
	.type	_ZN9rocsparseL16conjugate_kernelILj256EifEEvT0_PT1_,@function
_ZN9rocsparseL16conjugate_kernelILj256EifEEvT0_PT1_: ; @_ZN9rocsparseL16conjugate_kernelILj256EifEEvT0_PT1_
; %bb.0:
	s_endpgm
	.section	.rodata,"a",@progbits
	.p2align	6, 0x0
	.amdhsa_kernel _ZN9rocsparseL16conjugate_kernelILj256EifEEvT0_PT1_
		.amdhsa_group_segment_fixed_size 0
		.amdhsa_private_segment_fixed_size 0
		.amdhsa_kernarg_size 16
		.amdhsa_user_sgpr_count 2
		.amdhsa_user_sgpr_dispatch_ptr 0
		.amdhsa_user_sgpr_queue_ptr 0
		.amdhsa_user_sgpr_kernarg_segment_ptr 1
		.amdhsa_user_sgpr_dispatch_id 0
		.amdhsa_user_sgpr_kernarg_preload_length 0
		.amdhsa_user_sgpr_kernarg_preload_offset 0
		.amdhsa_user_sgpr_private_segment_size 0
		.amdhsa_wavefront_size32 1
		.amdhsa_uses_dynamic_stack 0
		.amdhsa_enable_private_segment 0
		.amdhsa_system_sgpr_workgroup_id_x 1
		.amdhsa_system_sgpr_workgroup_id_y 0
		.amdhsa_system_sgpr_workgroup_id_z 0
		.amdhsa_system_sgpr_workgroup_info 0
		.amdhsa_system_vgpr_workitem_id 0
		.amdhsa_next_free_vgpr 1
		.amdhsa_next_free_sgpr 1
		.amdhsa_named_barrier_count 0
		.amdhsa_reserve_vcc 0
		.amdhsa_float_round_mode_32 0
		.amdhsa_float_round_mode_16_64 0
		.amdhsa_float_denorm_mode_32 3
		.amdhsa_float_denorm_mode_16_64 3
		.amdhsa_fp16_overflow 0
		.amdhsa_memory_ordered 1
		.amdhsa_forward_progress 1
		.amdhsa_inst_pref_size 1
		.amdhsa_round_robin_scheduling 0
		.amdhsa_exception_fp_ieee_invalid_op 0
		.amdhsa_exception_fp_denorm_src 0
		.amdhsa_exception_fp_ieee_div_zero 0
		.amdhsa_exception_fp_ieee_overflow 0
		.amdhsa_exception_fp_ieee_underflow 0
		.amdhsa_exception_fp_ieee_inexact 0
		.amdhsa_exception_int_div_zero 0
	.end_amdhsa_kernel
	.section	.text._ZN9rocsparseL16conjugate_kernelILj256EifEEvT0_PT1_,"axG",@progbits,_ZN9rocsparseL16conjugate_kernelILj256EifEEvT0_PT1_,comdat
.Lfunc_end24:
	.size	_ZN9rocsparseL16conjugate_kernelILj256EifEEvT0_PT1_, .Lfunc_end24-_ZN9rocsparseL16conjugate_kernelILj256EifEEvT0_PT1_
                                        ; -- End function
	.set _ZN9rocsparseL16conjugate_kernelILj256EifEEvT0_PT1_.num_vgpr, 0
	.set _ZN9rocsparseL16conjugate_kernelILj256EifEEvT0_PT1_.num_agpr, 0
	.set _ZN9rocsparseL16conjugate_kernelILj256EifEEvT0_PT1_.numbered_sgpr, 0
	.set _ZN9rocsparseL16conjugate_kernelILj256EifEEvT0_PT1_.num_named_barrier, 0
	.set _ZN9rocsparseL16conjugate_kernelILj256EifEEvT0_PT1_.private_seg_size, 0
	.set _ZN9rocsparseL16conjugate_kernelILj256EifEEvT0_PT1_.uses_vcc, 0
	.set _ZN9rocsparseL16conjugate_kernelILj256EifEEvT0_PT1_.uses_flat_scratch, 0
	.set _ZN9rocsparseL16conjugate_kernelILj256EifEEvT0_PT1_.has_dyn_sized_stack, 0
	.set _ZN9rocsparseL16conjugate_kernelILj256EifEEvT0_PT1_.has_recursion, 0
	.set _ZN9rocsparseL16conjugate_kernelILj256EifEEvT0_PT1_.has_indirect_call, 0
	.section	.AMDGPU.csdata,"",@progbits
; Kernel info:
; codeLenInByte = 4
; TotalNumSgprs: 0
; NumVgprs: 0
; ScratchSize: 0
; MemoryBound: 0
; FloatMode: 240
; IeeeMode: 1
; LDSByteSize: 0 bytes/workgroup (compile time only)
; SGPRBlocks: 0
; VGPRBlocks: 0
; NumSGPRsForWavesPerEU: 1
; NumVGPRsForWavesPerEU: 1
; NamedBarCnt: 0
; Occupancy: 16
; WaveLimiterHint : 0
; COMPUTE_PGM_RSRC2:SCRATCH_EN: 0
; COMPUTE_PGM_RSRC2:USER_SGPR: 2
; COMPUTE_PGM_RSRC2:TRAP_HANDLER: 0
; COMPUTE_PGM_RSRC2:TGID_X_EN: 1
; COMPUTE_PGM_RSRC2:TGID_Y_EN: 0
; COMPUTE_PGM_RSRC2:TGID_Z_EN: 0
; COMPUTE_PGM_RSRC2:TIDIG_COMP_CNT: 0
	.section	.text._ZN9rocsparseL16conjugate_kernelILj256EidEEvT0_PT1_,"axG",@progbits,_ZN9rocsparseL16conjugate_kernelILj256EidEEvT0_PT1_,comdat
	.globl	_ZN9rocsparseL16conjugate_kernelILj256EidEEvT0_PT1_ ; -- Begin function _ZN9rocsparseL16conjugate_kernelILj256EidEEvT0_PT1_
	.p2align	8
	.type	_ZN9rocsparseL16conjugate_kernelILj256EidEEvT0_PT1_,@function
_ZN9rocsparseL16conjugate_kernelILj256EidEEvT0_PT1_: ; @_ZN9rocsparseL16conjugate_kernelILj256EidEEvT0_PT1_
; %bb.0:
	s_endpgm
	.section	.rodata,"a",@progbits
	.p2align	6, 0x0
	.amdhsa_kernel _ZN9rocsparseL16conjugate_kernelILj256EidEEvT0_PT1_
		.amdhsa_group_segment_fixed_size 0
		.amdhsa_private_segment_fixed_size 0
		.amdhsa_kernarg_size 16
		.amdhsa_user_sgpr_count 2
		.amdhsa_user_sgpr_dispatch_ptr 0
		.amdhsa_user_sgpr_queue_ptr 0
		.amdhsa_user_sgpr_kernarg_segment_ptr 1
		.amdhsa_user_sgpr_dispatch_id 0
		.amdhsa_user_sgpr_kernarg_preload_length 0
		.amdhsa_user_sgpr_kernarg_preload_offset 0
		.amdhsa_user_sgpr_private_segment_size 0
		.amdhsa_wavefront_size32 1
		.amdhsa_uses_dynamic_stack 0
		.amdhsa_enable_private_segment 0
		.amdhsa_system_sgpr_workgroup_id_x 1
		.amdhsa_system_sgpr_workgroup_id_y 0
		.amdhsa_system_sgpr_workgroup_id_z 0
		.amdhsa_system_sgpr_workgroup_info 0
		.amdhsa_system_vgpr_workitem_id 0
		.amdhsa_next_free_vgpr 1
		.amdhsa_next_free_sgpr 1
		.amdhsa_named_barrier_count 0
		.amdhsa_reserve_vcc 0
		.amdhsa_float_round_mode_32 0
		.amdhsa_float_round_mode_16_64 0
		.amdhsa_float_denorm_mode_32 3
		.amdhsa_float_denorm_mode_16_64 3
		.amdhsa_fp16_overflow 0
		.amdhsa_memory_ordered 1
		.amdhsa_forward_progress 1
		.amdhsa_inst_pref_size 1
		.amdhsa_round_robin_scheduling 0
		.amdhsa_exception_fp_ieee_invalid_op 0
		.amdhsa_exception_fp_denorm_src 0
		.amdhsa_exception_fp_ieee_div_zero 0
		.amdhsa_exception_fp_ieee_overflow 0
		.amdhsa_exception_fp_ieee_underflow 0
		.amdhsa_exception_fp_ieee_inexact 0
		.amdhsa_exception_int_div_zero 0
	.end_amdhsa_kernel
	.section	.text._ZN9rocsparseL16conjugate_kernelILj256EidEEvT0_PT1_,"axG",@progbits,_ZN9rocsparseL16conjugate_kernelILj256EidEEvT0_PT1_,comdat
.Lfunc_end25:
	.size	_ZN9rocsparseL16conjugate_kernelILj256EidEEvT0_PT1_, .Lfunc_end25-_ZN9rocsparseL16conjugate_kernelILj256EidEEvT0_PT1_
                                        ; -- End function
	.set _ZN9rocsparseL16conjugate_kernelILj256EidEEvT0_PT1_.num_vgpr, 0
	.set _ZN9rocsparseL16conjugate_kernelILj256EidEEvT0_PT1_.num_agpr, 0
	.set _ZN9rocsparseL16conjugate_kernelILj256EidEEvT0_PT1_.numbered_sgpr, 0
	.set _ZN9rocsparseL16conjugate_kernelILj256EidEEvT0_PT1_.num_named_barrier, 0
	.set _ZN9rocsparseL16conjugate_kernelILj256EidEEvT0_PT1_.private_seg_size, 0
	.set _ZN9rocsparseL16conjugate_kernelILj256EidEEvT0_PT1_.uses_vcc, 0
	.set _ZN9rocsparseL16conjugate_kernelILj256EidEEvT0_PT1_.uses_flat_scratch, 0
	.set _ZN9rocsparseL16conjugate_kernelILj256EidEEvT0_PT1_.has_dyn_sized_stack, 0
	.set _ZN9rocsparseL16conjugate_kernelILj256EidEEvT0_PT1_.has_recursion, 0
	.set _ZN9rocsparseL16conjugate_kernelILj256EidEEvT0_PT1_.has_indirect_call, 0
	.section	.AMDGPU.csdata,"",@progbits
; Kernel info:
; codeLenInByte = 4
; TotalNumSgprs: 0
; NumVgprs: 0
; ScratchSize: 0
; MemoryBound: 0
; FloatMode: 240
; IeeeMode: 1
; LDSByteSize: 0 bytes/workgroup (compile time only)
; SGPRBlocks: 0
; VGPRBlocks: 0
; NumSGPRsForWavesPerEU: 1
; NumVGPRsForWavesPerEU: 1
; NamedBarCnt: 0
; Occupancy: 16
; WaveLimiterHint : 0
; COMPUTE_PGM_RSRC2:SCRATCH_EN: 0
; COMPUTE_PGM_RSRC2:USER_SGPR: 2
; COMPUTE_PGM_RSRC2:TRAP_HANDLER: 0
; COMPUTE_PGM_RSRC2:TGID_X_EN: 1
; COMPUTE_PGM_RSRC2:TGID_Y_EN: 0
; COMPUTE_PGM_RSRC2:TGID_Z_EN: 0
; COMPUTE_PGM_RSRC2:TIDIG_COMP_CNT: 0
	.section	.text._ZN9rocsparseL16conjugate_kernelILj256Ei21rocsparse_complex_numIfEEEvT0_PT1_,"axG",@progbits,_ZN9rocsparseL16conjugate_kernelILj256Ei21rocsparse_complex_numIfEEEvT0_PT1_,comdat
	.globl	_ZN9rocsparseL16conjugate_kernelILj256Ei21rocsparse_complex_numIfEEEvT0_PT1_ ; -- Begin function _ZN9rocsparseL16conjugate_kernelILj256Ei21rocsparse_complex_numIfEEEvT0_PT1_
	.p2align	8
	.type	_ZN9rocsparseL16conjugate_kernelILj256Ei21rocsparse_complex_numIfEEEvT0_PT1_,@function
_ZN9rocsparseL16conjugate_kernelILj256Ei21rocsparse_complex_numIfEEEvT0_PT1_: ; @_ZN9rocsparseL16conjugate_kernelILj256Ei21rocsparse_complex_numIfEEEvT0_PT1_
; %bb.0:
	s_load_b32 s2, s[0:1], 0x0
	s_bfe_u32 s3, ttmp6, 0x4000c
	s_and_b32 s4, ttmp6, 15
	s_add_co_i32 s3, s3, 1
	s_getreg_b32 s5, hwreg(HW_REG_IB_STS2, 6, 4)
	s_mul_i32 s3, ttmp9, s3
	s_delay_alu instid0(SALU_CYCLE_1) | instskip(SKIP_2) | instid1(SALU_CYCLE_1)
	s_add_co_i32 s4, s4, s3
	s_cmp_eq_u32 s5, 0
	s_cselect_b32 s3, ttmp9, s4
	v_lshl_or_b32 v0, s3, 8, v0
	s_wait_kmcnt 0x0
	s_delay_alu instid0(VALU_DEP_1)
	v_cmp_gt_i32_e32 vcc_lo, s2, v0
	s_and_saveexec_b32 s2, vcc_lo
	s_cbranch_execz .LBB26_2
; %bb.1:
	s_load_b64 s[0:1], s[0:1], 0x8
	v_ashrrev_i32_e32 v1, 31, v0
	s_wait_kmcnt 0x0
	s_delay_alu instid0(VALU_DEP_1)
	v_lshl_add_u64 v[0:1], v[0:1], 3, s[0:1]
	global_load_b32 v2, v[0:1], off offset:4
	s_wait_loadcnt 0x0
	v_xor_b32_e32 v2, 0x80000000, v2
	global_store_b32 v[0:1], v2, off offset:4
.LBB26_2:
	s_endpgm
	.section	.rodata,"a",@progbits
	.p2align	6, 0x0
	.amdhsa_kernel _ZN9rocsparseL16conjugate_kernelILj256Ei21rocsparse_complex_numIfEEEvT0_PT1_
		.amdhsa_group_segment_fixed_size 0
		.amdhsa_private_segment_fixed_size 0
		.amdhsa_kernarg_size 16
		.amdhsa_user_sgpr_count 2
		.amdhsa_user_sgpr_dispatch_ptr 0
		.amdhsa_user_sgpr_queue_ptr 0
		.amdhsa_user_sgpr_kernarg_segment_ptr 1
		.amdhsa_user_sgpr_dispatch_id 0
		.amdhsa_user_sgpr_kernarg_preload_length 0
		.amdhsa_user_sgpr_kernarg_preload_offset 0
		.amdhsa_user_sgpr_private_segment_size 0
		.amdhsa_wavefront_size32 1
		.amdhsa_uses_dynamic_stack 0
		.amdhsa_enable_private_segment 0
		.amdhsa_system_sgpr_workgroup_id_x 1
		.amdhsa_system_sgpr_workgroup_id_y 0
		.amdhsa_system_sgpr_workgroup_id_z 0
		.amdhsa_system_sgpr_workgroup_info 0
		.amdhsa_system_vgpr_workitem_id 0
		.amdhsa_next_free_vgpr 3
		.amdhsa_next_free_sgpr 6
		.amdhsa_named_barrier_count 0
		.amdhsa_reserve_vcc 1
		.amdhsa_float_round_mode_32 0
		.amdhsa_float_round_mode_16_64 0
		.amdhsa_float_denorm_mode_32 3
		.amdhsa_float_denorm_mode_16_64 3
		.amdhsa_fp16_overflow 0
		.amdhsa_memory_ordered 1
		.amdhsa_forward_progress 1
		.amdhsa_inst_pref_size 2
		.amdhsa_round_robin_scheduling 0
		.amdhsa_exception_fp_ieee_invalid_op 0
		.amdhsa_exception_fp_denorm_src 0
		.amdhsa_exception_fp_ieee_div_zero 0
		.amdhsa_exception_fp_ieee_overflow 0
		.amdhsa_exception_fp_ieee_underflow 0
		.amdhsa_exception_fp_ieee_inexact 0
		.amdhsa_exception_int_div_zero 0
	.end_amdhsa_kernel
	.section	.text._ZN9rocsparseL16conjugate_kernelILj256Ei21rocsparse_complex_numIfEEEvT0_PT1_,"axG",@progbits,_ZN9rocsparseL16conjugate_kernelILj256Ei21rocsparse_complex_numIfEEEvT0_PT1_,comdat
.Lfunc_end26:
	.size	_ZN9rocsparseL16conjugate_kernelILj256Ei21rocsparse_complex_numIfEEEvT0_PT1_, .Lfunc_end26-_ZN9rocsparseL16conjugate_kernelILj256Ei21rocsparse_complex_numIfEEEvT0_PT1_
                                        ; -- End function
	.set _ZN9rocsparseL16conjugate_kernelILj256Ei21rocsparse_complex_numIfEEEvT0_PT1_.num_vgpr, 3
	.set _ZN9rocsparseL16conjugate_kernelILj256Ei21rocsparse_complex_numIfEEEvT0_PT1_.num_agpr, 0
	.set _ZN9rocsparseL16conjugate_kernelILj256Ei21rocsparse_complex_numIfEEEvT0_PT1_.numbered_sgpr, 6
	.set _ZN9rocsparseL16conjugate_kernelILj256Ei21rocsparse_complex_numIfEEEvT0_PT1_.num_named_barrier, 0
	.set _ZN9rocsparseL16conjugate_kernelILj256Ei21rocsparse_complex_numIfEEEvT0_PT1_.private_seg_size, 0
	.set _ZN9rocsparseL16conjugate_kernelILj256Ei21rocsparse_complex_numIfEEEvT0_PT1_.uses_vcc, 1
	.set _ZN9rocsparseL16conjugate_kernelILj256Ei21rocsparse_complex_numIfEEEvT0_PT1_.uses_flat_scratch, 0
	.set _ZN9rocsparseL16conjugate_kernelILj256Ei21rocsparse_complex_numIfEEEvT0_PT1_.has_dyn_sized_stack, 0
	.set _ZN9rocsparseL16conjugate_kernelILj256Ei21rocsparse_complex_numIfEEEvT0_PT1_.has_recursion, 0
	.set _ZN9rocsparseL16conjugate_kernelILj256Ei21rocsparse_complex_numIfEEEvT0_PT1_.has_indirect_call, 0
	.section	.AMDGPU.csdata,"",@progbits
; Kernel info:
; codeLenInByte = 144
; TotalNumSgprs: 8
; NumVgprs: 3
; ScratchSize: 0
; MemoryBound: 0
; FloatMode: 240
; IeeeMode: 1
; LDSByteSize: 0 bytes/workgroup (compile time only)
; SGPRBlocks: 0
; VGPRBlocks: 0
; NumSGPRsForWavesPerEU: 8
; NumVGPRsForWavesPerEU: 3
; NamedBarCnt: 0
; Occupancy: 16
; WaveLimiterHint : 0
; COMPUTE_PGM_RSRC2:SCRATCH_EN: 0
; COMPUTE_PGM_RSRC2:USER_SGPR: 2
; COMPUTE_PGM_RSRC2:TRAP_HANDLER: 0
; COMPUTE_PGM_RSRC2:TGID_X_EN: 1
; COMPUTE_PGM_RSRC2:TGID_Y_EN: 0
; COMPUTE_PGM_RSRC2:TGID_Z_EN: 0
; COMPUTE_PGM_RSRC2:TIDIG_COMP_CNT: 0
	.section	.text._ZN9rocsparseL16conjugate_kernelILj256Ei21rocsparse_complex_numIdEEEvT0_PT1_,"axG",@progbits,_ZN9rocsparseL16conjugate_kernelILj256Ei21rocsparse_complex_numIdEEEvT0_PT1_,comdat
	.globl	_ZN9rocsparseL16conjugate_kernelILj256Ei21rocsparse_complex_numIdEEEvT0_PT1_ ; -- Begin function _ZN9rocsparseL16conjugate_kernelILj256Ei21rocsparse_complex_numIdEEEvT0_PT1_
	.p2align	8
	.type	_ZN9rocsparseL16conjugate_kernelILj256Ei21rocsparse_complex_numIdEEEvT0_PT1_,@function
_ZN9rocsparseL16conjugate_kernelILj256Ei21rocsparse_complex_numIdEEEvT0_PT1_: ; @_ZN9rocsparseL16conjugate_kernelILj256Ei21rocsparse_complex_numIdEEEvT0_PT1_
; %bb.0:
	s_load_b32 s2, s[0:1], 0x0
	s_bfe_u32 s3, ttmp6, 0x4000c
	s_and_b32 s4, ttmp6, 15
	s_add_co_i32 s3, s3, 1
	s_getreg_b32 s5, hwreg(HW_REG_IB_STS2, 6, 4)
	s_mul_i32 s3, ttmp9, s3
	s_delay_alu instid0(SALU_CYCLE_1) | instskip(SKIP_2) | instid1(SALU_CYCLE_1)
	s_add_co_i32 s4, s4, s3
	s_cmp_eq_u32 s5, 0
	s_cselect_b32 s3, ttmp9, s4
	v_lshl_or_b32 v0, s3, 8, v0
	s_wait_kmcnt 0x0
	s_delay_alu instid0(VALU_DEP_1)
	v_cmp_gt_i32_e32 vcc_lo, s2, v0
	s_and_saveexec_b32 s2, vcc_lo
	s_cbranch_execz .LBB27_2
; %bb.1:
	s_load_b64 s[0:1], s[0:1], 0x8
	v_ashrrev_i32_e32 v1, 31, v0
	s_wait_kmcnt 0x0
	s_delay_alu instid0(VALU_DEP_1)
	v_lshl_add_u64 v[0:1], v[0:1], 4, s[0:1]
	global_load_b64 v[2:3], v[0:1], off offset:8
	s_wait_loadcnt 0x0
	v_xor_b32_e32 v3, 0x80000000, v3
	global_store_b64 v[0:1], v[2:3], off offset:8
.LBB27_2:
	s_endpgm
	.section	.rodata,"a",@progbits
	.p2align	6, 0x0
	.amdhsa_kernel _ZN9rocsparseL16conjugate_kernelILj256Ei21rocsparse_complex_numIdEEEvT0_PT1_
		.amdhsa_group_segment_fixed_size 0
		.amdhsa_private_segment_fixed_size 0
		.amdhsa_kernarg_size 16
		.amdhsa_user_sgpr_count 2
		.amdhsa_user_sgpr_dispatch_ptr 0
		.amdhsa_user_sgpr_queue_ptr 0
		.amdhsa_user_sgpr_kernarg_segment_ptr 1
		.amdhsa_user_sgpr_dispatch_id 0
		.amdhsa_user_sgpr_kernarg_preload_length 0
		.amdhsa_user_sgpr_kernarg_preload_offset 0
		.amdhsa_user_sgpr_private_segment_size 0
		.amdhsa_wavefront_size32 1
		.amdhsa_uses_dynamic_stack 0
		.amdhsa_enable_private_segment 0
		.amdhsa_system_sgpr_workgroup_id_x 1
		.amdhsa_system_sgpr_workgroup_id_y 0
		.amdhsa_system_sgpr_workgroup_id_z 0
		.amdhsa_system_sgpr_workgroup_info 0
		.amdhsa_system_vgpr_workitem_id 0
		.amdhsa_next_free_vgpr 4
		.amdhsa_next_free_sgpr 6
		.amdhsa_named_barrier_count 0
		.amdhsa_reserve_vcc 1
		.amdhsa_float_round_mode_32 0
		.amdhsa_float_round_mode_16_64 0
		.amdhsa_float_denorm_mode_32 3
		.amdhsa_float_denorm_mode_16_64 3
		.amdhsa_fp16_overflow 0
		.amdhsa_memory_ordered 1
		.amdhsa_forward_progress 1
		.amdhsa_inst_pref_size 2
		.amdhsa_round_robin_scheduling 0
		.amdhsa_exception_fp_ieee_invalid_op 0
		.amdhsa_exception_fp_denorm_src 0
		.amdhsa_exception_fp_ieee_div_zero 0
		.amdhsa_exception_fp_ieee_overflow 0
		.amdhsa_exception_fp_ieee_underflow 0
		.amdhsa_exception_fp_ieee_inexact 0
		.amdhsa_exception_int_div_zero 0
	.end_amdhsa_kernel
	.section	.text._ZN9rocsparseL16conjugate_kernelILj256Ei21rocsparse_complex_numIdEEEvT0_PT1_,"axG",@progbits,_ZN9rocsparseL16conjugate_kernelILj256Ei21rocsparse_complex_numIdEEEvT0_PT1_,comdat
.Lfunc_end27:
	.size	_ZN9rocsparseL16conjugate_kernelILj256Ei21rocsparse_complex_numIdEEEvT0_PT1_, .Lfunc_end27-_ZN9rocsparseL16conjugate_kernelILj256Ei21rocsparse_complex_numIdEEEvT0_PT1_
                                        ; -- End function
	.set _ZN9rocsparseL16conjugate_kernelILj256Ei21rocsparse_complex_numIdEEEvT0_PT1_.num_vgpr, 4
	.set _ZN9rocsparseL16conjugate_kernelILj256Ei21rocsparse_complex_numIdEEEvT0_PT1_.num_agpr, 0
	.set _ZN9rocsparseL16conjugate_kernelILj256Ei21rocsparse_complex_numIdEEEvT0_PT1_.numbered_sgpr, 6
	.set _ZN9rocsparseL16conjugate_kernelILj256Ei21rocsparse_complex_numIdEEEvT0_PT1_.num_named_barrier, 0
	.set _ZN9rocsparseL16conjugate_kernelILj256Ei21rocsparse_complex_numIdEEEvT0_PT1_.private_seg_size, 0
	.set _ZN9rocsparseL16conjugate_kernelILj256Ei21rocsparse_complex_numIdEEEvT0_PT1_.uses_vcc, 1
	.set _ZN9rocsparseL16conjugate_kernelILj256Ei21rocsparse_complex_numIdEEEvT0_PT1_.uses_flat_scratch, 0
	.set _ZN9rocsparseL16conjugate_kernelILj256Ei21rocsparse_complex_numIdEEEvT0_PT1_.has_dyn_sized_stack, 0
	.set _ZN9rocsparseL16conjugate_kernelILj256Ei21rocsparse_complex_numIdEEEvT0_PT1_.has_recursion, 0
	.set _ZN9rocsparseL16conjugate_kernelILj256Ei21rocsparse_complex_numIdEEEvT0_PT1_.has_indirect_call, 0
	.section	.AMDGPU.csdata,"",@progbits
; Kernel info:
; codeLenInByte = 144
; TotalNumSgprs: 8
; NumVgprs: 4
; ScratchSize: 0
; MemoryBound: 0
; FloatMode: 240
; IeeeMode: 1
; LDSByteSize: 0 bytes/workgroup (compile time only)
; SGPRBlocks: 0
; VGPRBlocks: 0
; NumSGPRsForWavesPerEU: 8
; NumVGPRsForWavesPerEU: 4
; NamedBarCnt: 0
; Occupancy: 16
; WaveLimiterHint : 0
; COMPUTE_PGM_RSRC2:SCRATCH_EN: 0
; COMPUTE_PGM_RSRC2:USER_SGPR: 2
; COMPUTE_PGM_RSRC2:TRAP_HANDLER: 0
; COMPUTE_PGM_RSRC2:TGID_X_EN: 1
; COMPUTE_PGM_RSRC2:TGID_Y_EN: 0
; COMPUTE_PGM_RSRC2:TGID_Z_EN: 0
; COMPUTE_PGM_RSRC2:TIDIG_COMP_CNT: 0
	.section	.text._ZN9rocsparseL16conjugate_kernelILj256ElfEEvT0_PT1_,"axG",@progbits,_ZN9rocsparseL16conjugate_kernelILj256ElfEEvT0_PT1_,comdat
	.globl	_ZN9rocsparseL16conjugate_kernelILj256ElfEEvT0_PT1_ ; -- Begin function _ZN9rocsparseL16conjugate_kernelILj256ElfEEvT0_PT1_
	.p2align	8
	.type	_ZN9rocsparseL16conjugate_kernelILj256ElfEEvT0_PT1_,@function
_ZN9rocsparseL16conjugate_kernelILj256ElfEEvT0_PT1_: ; @_ZN9rocsparseL16conjugate_kernelILj256ElfEEvT0_PT1_
; %bb.0:
	s_endpgm
	.section	.rodata,"a",@progbits
	.p2align	6, 0x0
	.amdhsa_kernel _ZN9rocsparseL16conjugate_kernelILj256ElfEEvT0_PT1_
		.amdhsa_group_segment_fixed_size 0
		.amdhsa_private_segment_fixed_size 0
		.amdhsa_kernarg_size 16
		.amdhsa_user_sgpr_count 2
		.amdhsa_user_sgpr_dispatch_ptr 0
		.amdhsa_user_sgpr_queue_ptr 0
		.amdhsa_user_sgpr_kernarg_segment_ptr 1
		.amdhsa_user_sgpr_dispatch_id 0
		.amdhsa_user_sgpr_kernarg_preload_length 0
		.amdhsa_user_sgpr_kernarg_preload_offset 0
		.amdhsa_user_sgpr_private_segment_size 0
		.amdhsa_wavefront_size32 1
		.amdhsa_uses_dynamic_stack 0
		.amdhsa_enable_private_segment 0
		.amdhsa_system_sgpr_workgroup_id_x 1
		.amdhsa_system_sgpr_workgroup_id_y 0
		.amdhsa_system_sgpr_workgroup_id_z 0
		.amdhsa_system_sgpr_workgroup_info 0
		.amdhsa_system_vgpr_workitem_id 0
		.amdhsa_next_free_vgpr 1
		.amdhsa_next_free_sgpr 1
		.amdhsa_named_barrier_count 0
		.amdhsa_reserve_vcc 0
		.amdhsa_float_round_mode_32 0
		.amdhsa_float_round_mode_16_64 0
		.amdhsa_float_denorm_mode_32 3
		.amdhsa_float_denorm_mode_16_64 3
		.amdhsa_fp16_overflow 0
		.amdhsa_memory_ordered 1
		.amdhsa_forward_progress 1
		.amdhsa_inst_pref_size 1
		.amdhsa_round_robin_scheduling 0
		.amdhsa_exception_fp_ieee_invalid_op 0
		.amdhsa_exception_fp_denorm_src 0
		.amdhsa_exception_fp_ieee_div_zero 0
		.amdhsa_exception_fp_ieee_overflow 0
		.amdhsa_exception_fp_ieee_underflow 0
		.amdhsa_exception_fp_ieee_inexact 0
		.amdhsa_exception_int_div_zero 0
	.end_amdhsa_kernel
	.section	.text._ZN9rocsparseL16conjugate_kernelILj256ElfEEvT0_PT1_,"axG",@progbits,_ZN9rocsparseL16conjugate_kernelILj256ElfEEvT0_PT1_,comdat
.Lfunc_end28:
	.size	_ZN9rocsparseL16conjugate_kernelILj256ElfEEvT0_PT1_, .Lfunc_end28-_ZN9rocsparseL16conjugate_kernelILj256ElfEEvT0_PT1_
                                        ; -- End function
	.set _ZN9rocsparseL16conjugate_kernelILj256ElfEEvT0_PT1_.num_vgpr, 0
	.set _ZN9rocsparseL16conjugate_kernelILj256ElfEEvT0_PT1_.num_agpr, 0
	.set _ZN9rocsparseL16conjugate_kernelILj256ElfEEvT0_PT1_.numbered_sgpr, 0
	.set _ZN9rocsparseL16conjugate_kernelILj256ElfEEvT0_PT1_.num_named_barrier, 0
	.set _ZN9rocsparseL16conjugate_kernelILj256ElfEEvT0_PT1_.private_seg_size, 0
	.set _ZN9rocsparseL16conjugate_kernelILj256ElfEEvT0_PT1_.uses_vcc, 0
	.set _ZN9rocsparseL16conjugate_kernelILj256ElfEEvT0_PT1_.uses_flat_scratch, 0
	.set _ZN9rocsparseL16conjugate_kernelILj256ElfEEvT0_PT1_.has_dyn_sized_stack, 0
	.set _ZN9rocsparseL16conjugate_kernelILj256ElfEEvT0_PT1_.has_recursion, 0
	.set _ZN9rocsparseL16conjugate_kernelILj256ElfEEvT0_PT1_.has_indirect_call, 0
	.section	.AMDGPU.csdata,"",@progbits
; Kernel info:
; codeLenInByte = 4
; TotalNumSgprs: 0
; NumVgprs: 0
; ScratchSize: 0
; MemoryBound: 0
; FloatMode: 240
; IeeeMode: 1
; LDSByteSize: 0 bytes/workgroup (compile time only)
; SGPRBlocks: 0
; VGPRBlocks: 0
; NumSGPRsForWavesPerEU: 1
; NumVGPRsForWavesPerEU: 1
; NamedBarCnt: 0
; Occupancy: 16
; WaveLimiterHint : 0
; COMPUTE_PGM_RSRC2:SCRATCH_EN: 0
; COMPUTE_PGM_RSRC2:USER_SGPR: 2
; COMPUTE_PGM_RSRC2:TRAP_HANDLER: 0
; COMPUTE_PGM_RSRC2:TGID_X_EN: 1
; COMPUTE_PGM_RSRC2:TGID_Y_EN: 0
; COMPUTE_PGM_RSRC2:TGID_Z_EN: 0
; COMPUTE_PGM_RSRC2:TIDIG_COMP_CNT: 0
	.section	.text._ZN9rocsparseL16conjugate_kernelILj256EldEEvT0_PT1_,"axG",@progbits,_ZN9rocsparseL16conjugate_kernelILj256EldEEvT0_PT1_,comdat
	.globl	_ZN9rocsparseL16conjugate_kernelILj256EldEEvT0_PT1_ ; -- Begin function _ZN9rocsparseL16conjugate_kernelILj256EldEEvT0_PT1_
	.p2align	8
	.type	_ZN9rocsparseL16conjugate_kernelILj256EldEEvT0_PT1_,@function
_ZN9rocsparseL16conjugate_kernelILj256EldEEvT0_PT1_: ; @_ZN9rocsparseL16conjugate_kernelILj256EldEEvT0_PT1_
; %bb.0:
	s_endpgm
	.section	.rodata,"a",@progbits
	.p2align	6, 0x0
	.amdhsa_kernel _ZN9rocsparseL16conjugate_kernelILj256EldEEvT0_PT1_
		.amdhsa_group_segment_fixed_size 0
		.amdhsa_private_segment_fixed_size 0
		.amdhsa_kernarg_size 16
		.amdhsa_user_sgpr_count 2
		.amdhsa_user_sgpr_dispatch_ptr 0
		.amdhsa_user_sgpr_queue_ptr 0
		.amdhsa_user_sgpr_kernarg_segment_ptr 1
		.amdhsa_user_sgpr_dispatch_id 0
		.amdhsa_user_sgpr_kernarg_preload_length 0
		.amdhsa_user_sgpr_kernarg_preload_offset 0
		.amdhsa_user_sgpr_private_segment_size 0
		.amdhsa_wavefront_size32 1
		.amdhsa_uses_dynamic_stack 0
		.amdhsa_enable_private_segment 0
		.amdhsa_system_sgpr_workgroup_id_x 1
		.amdhsa_system_sgpr_workgroup_id_y 0
		.amdhsa_system_sgpr_workgroup_id_z 0
		.amdhsa_system_sgpr_workgroup_info 0
		.amdhsa_system_vgpr_workitem_id 0
		.amdhsa_next_free_vgpr 1
		.amdhsa_next_free_sgpr 1
		.amdhsa_named_barrier_count 0
		.amdhsa_reserve_vcc 0
		.amdhsa_float_round_mode_32 0
		.amdhsa_float_round_mode_16_64 0
		.amdhsa_float_denorm_mode_32 3
		.amdhsa_float_denorm_mode_16_64 3
		.amdhsa_fp16_overflow 0
		.amdhsa_memory_ordered 1
		.amdhsa_forward_progress 1
		.amdhsa_inst_pref_size 1
		.amdhsa_round_robin_scheduling 0
		.amdhsa_exception_fp_ieee_invalid_op 0
		.amdhsa_exception_fp_denorm_src 0
		.amdhsa_exception_fp_ieee_div_zero 0
		.amdhsa_exception_fp_ieee_overflow 0
		.amdhsa_exception_fp_ieee_underflow 0
		.amdhsa_exception_fp_ieee_inexact 0
		.amdhsa_exception_int_div_zero 0
	.end_amdhsa_kernel
	.section	.text._ZN9rocsparseL16conjugate_kernelILj256EldEEvT0_PT1_,"axG",@progbits,_ZN9rocsparseL16conjugate_kernelILj256EldEEvT0_PT1_,comdat
.Lfunc_end29:
	.size	_ZN9rocsparseL16conjugate_kernelILj256EldEEvT0_PT1_, .Lfunc_end29-_ZN9rocsparseL16conjugate_kernelILj256EldEEvT0_PT1_
                                        ; -- End function
	.set _ZN9rocsparseL16conjugate_kernelILj256EldEEvT0_PT1_.num_vgpr, 0
	.set _ZN9rocsparseL16conjugate_kernelILj256EldEEvT0_PT1_.num_agpr, 0
	.set _ZN9rocsparseL16conjugate_kernelILj256EldEEvT0_PT1_.numbered_sgpr, 0
	.set _ZN9rocsparseL16conjugate_kernelILj256EldEEvT0_PT1_.num_named_barrier, 0
	.set _ZN9rocsparseL16conjugate_kernelILj256EldEEvT0_PT1_.private_seg_size, 0
	.set _ZN9rocsparseL16conjugate_kernelILj256EldEEvT0_PT1_.uses_vcc, 0
	.set _ZN9rocsparseL16conjugate_kernelILj256EldEEvT0_PT1_.uses_flat_scratch, 0
	.set _ZN9rocsparseL16conjugate_kernelILj256EldEEvT0_PT1_.has_dyn_sized_stack, 0
	.set _ZN9rocsparseL16conjugate_kernelILj256EldEEvT0_PT1_.has_recursion, 0
	.set _ZN9rocsparseL16conjugate_kernelILj256EldEEvT0_PT1_.has_indirect_call, 0
	.section	.AMDGPU.csdata,"",@progbits
; Kernel info:
; codeLenInByte = 4
; TotalNumSgprs: 0
; NumVgprs: 0
; ScratchSize: 0
; MemoryBound: 0
; FloatMode: 240
; IeeeMode: 1
; LDSByteSize: 0 bytes/workgroup (compile time only)
; SGPRBlocks: 0
; VGPRBlocks: 0
; NumSGPRsForWavesPerEU: 1
; NumVGPRsForWavesPerEU: 1
; NamedBarCnt: 0
; Occupancy: 16
; WaveLimiterHint : 0
; COMPUTE_PGM_RSRC2:SCRATCH_EN: 0
; COMPUTE_PGM_RSRC2:USER_SGPR: 2
; COMPUTE_PGM_RSRC2:TRAP_HANDLER: 0
; COMPUTE_PGM_RSRC2:TGID_X_EN: 1
; COMPUTE_PGM_RSRC2:TGID_Y_EN: 0
; COMPUTE_PGM_RSRC2:TGID_Z_EN: 0
; COMPUTE_PGM_RSRC2:TIDIG_COMP_CNT: 0
	.section	.text._ZN9rocsparseL16conjugate_kernelILj256El21rocsparse_complex_numIfEEEvT0_PT1_,"axG",@progbits,_ZN9rocsparseL16conjugate_kernelILj256El21rocsparse_complex_numIfEEEvT0_PT1_,comdat
	.globl	_ZN9rocsparseL16conjugate_kernelILj256El21rocsparse_complex_numIfEEEvT0_PT1_ ; -- Begin function _ZN9rocsparseL16conjugate_kernelILj256El21rocsparse_complex_numIfEEEvT0_PT1_
	.p2align	8
	.type	_ZN9rocsparseL16conjugate_kernelILj256El21rocsparse_complex_numIfEEEvT0_PT1_,@function
_ZN9rocsparseL16conjugate_kernelILj256El21rocsparse_complex_numIfEEEvT0_PT1_: ; @_ZN9rocsparseL16conjugate_kernelILj256El21rocsparse_complex_numIfEEEvT0_PT1_
; %bb.0:
	s_load_b128 s[0:3], s[0:1], 0x0
	s_bfe_u32 s4, ttmp6, 0x4000c
	s_and_b32 s5, ttmp6, 15
	s_add_co_i32 s4, s4, 1
	s_getreg_b32 s6, hwreg(HW_REG_IB_STS2, 6, 4)
	s_mul_i32 s4, ttmp9, s4
	v_mov_b32_e32 v1, 0
	s_add_co_i32 s5, s5, s4
	s_cmp_eq_u32 s6, 0
	s_cselect_b32 s4, ttmp9, s5
	s_delay_alu instid0(SALU_CYCLE_1) | instskip(SKIP_1) | instid1(VALU_DEP_1)
	v_lshl_or_b32 v0, s4, 8, v0
	s_wait_kmcnt 0x0
	v_cmp_gt_i64_e32 vcc_lo, s[0:1], v[0:1]
	s_and_saveexec_b32 s0, vcc_lo
	s_cbranch_execz .LBB30_2
; %bb.1:
	v_lshl_add_u64 v[0:1], v[0:1], 3, s[2:3]
	global_load_b32 v2, v[0:1], off offset:4
	s_wait_loadcnt 0x0
	v_xor_b32_e32 v2, 0x80000000, v2
	global_store_b32 v[0:1], v2, off offset:4
.LBB30_2:
	s_endpgm
	.section	.rodata,"a",@progbits
	.p2align	6, 0x0
	.amdhsa_kernel _ZN9rocsparseL16conjugate_kernelILj256El21rocsparse_complex_numIfEEEvT0_PT1_
		.amdhsa_group_segment_fixed_size 0
		.amdhsa_private_segment_fixed_size 0
		.amdhsa_kernarg_size 16
		.amdhsa_user_sgpr_count 2
		.amdhsa_user_sgpr_dispatch_ptr 0
		.amdhsa_user_sgpr_queue_ptr 0
		.amdhsa_user_sgpr_kernarg_segment_ptr 1
		.amdhsa_user_sgpr_dispatch_id 0
		.amdhsa_user_sgpr_kernarg_preload_length 0
		.amdhsa_user_sgpr_kernarg_preload_offset 0
		.amdhsa_user_sgpr_private_segment_size 0
		.amdhsa_wavefront_size32 1
		.amdhsa_uses_dynamic_stack 0
		.amdhsa_enable_private_segment 0
		.amdhsa_system_sgpr_workgroup_id_x 1
		.amdhsa_system_sgpr_workgroup_id_y 0
		.amdhsa_system_sgpr_workgroup_id_z 0
		.amdhsa_system_sgpr_workgroup_info 0
		.amdhsa_system_vgpr_workitem_id 0
		.amdhsa_next_free_vgpr 3
		.amdhsa_next_free_sgpr 7
		.amdhsa_named_barrier_count 0
		.amdhsa_reserve_vcc 1
		.amdhsa_float_round_mode_32 0
		.amdhsa_float_round_mode_16_64 0
		.amdhsa_float_denorm_mode_32 3
		.amdhsa_float_denorm_mode_16_64 3
		.amdhsa_fp16_overflow 0
		.amdhsa_memory_ordered 1
		.amdhsa_forward_progress 1
		.amdhsa_inst_pref_size 1
		.amdhsa_round_robin_scheduling 0
		.amdhsa_exception_fp_ieee_invalid_op 0
		.amdhsa_exception_fp_denorm_src 0
		.amdhsa_exception_fp_ieee_div_zero 0
		.amdhsa_exception_fp_ieee_overflow 0
		.amdhsa_exception_fp_ieee_underflow 0
		.amdhsa_exception_fp_ieee_inexact 0
		.amdhsa_exception_int_div_zero 0
	.end_amdhsa_kernel
	.section	.text._ZN9rocsparseL16conjugate_kernelILj256El21rocsparse_complex_numIfEEEvT0_PT1_,"axG",@progbits,_ZN9rocsparseL16conjugate_kernelILj256El21rocsparse_complex_numIfEEEvT0_PT1_,comdat
.Lfunc_end30:
	.size	_ZN9rocsparseL16conjugate_kernelILj256El21rocsparse_complex_numIfEEEvT0_PT1_, .Lfunc_end30-_ZN9rocsparseL16conjugate_kernelILj256El21rocsparse_complex_numIfEEEvT0_PT1_
                                        ; -- End function
	.set _ZN9rocsparseL16conjugate_kernelILj256El21rocsparse_complex_numIfEEEvT0_PT1_.num_vgpr, 3
	.set _ZN9rocsparseL16conjugate_kernelILj256El21rocsparse_complex_numIfEEEvT0_PT1_.num_agpr, 0
	.set _ZN9rocsparseL16conjugate_kernelILj256El21rocsparse_complex_numIfEEEvT0_PT1_.numbered_sgpr, 7
	.set _ZN9rocsparseL16conjugate_kernelILj256El21rocsparse_complex_numIfEEEvT0_PT1_.num_named_barrier, 0
	.set _ZN9rocsparseL16conjugate_kernelILj256El21rocsparse_complex_numIfEEEvT0_PT1_.private_seg_size, 0
	.set _ZN9rocsparseL16conjugate_kernelILj256El21rocsparse_complex_numIfEEEvT0_PT1_.uses_vcc, 1
	.set _ZN9rocsparseL16conjugate_kernelILj256El21rocsparse_complex_numIfEEEvT0_PT1_.uses_flat_scratch, 0
	.set _ZN9rocsparseL16conjugate_kernelILj256El21rocsparse_complex_numIfEEEvT0_PT1_.has_dyn_sized_stack, 0
	.set _ZN9rocsparseL16conjugate_kernelILj256El21rocsparse_complex_numIfEEEvT0_PT1_.has_recursion, 0
	.set _ZN9rocsparseL16conjugate_kernelILj256El21rocsparse_complex_numIfEEEvT0_PT1_.has_indirect_call, 0
	.section	.AMDGPU.csdata,"",@progbits
; Kernel info:
; codeLenInByte = 124
; TotalNumSgprs: 9
; NumVgprs: 3
; ScratchSize: 0
; MemoryBound: 0
; FloatMode: 240
; IeeeMode: 1
; LDSByteSize: 0 bytes/workgroup (compile time only)
; SGPRBlocks: 0
; VGPRBlocks: 0
; NumSGPRsForWavesPerEU: 9
; NumVGPRsForWavesPerEU: 3
; NamedBarCnt: 0
; Occupancy: 16
; WaveLimiterHint : 0
; COMPUTE_PGM_RSRC2:SCRATCH_EN: 0
; COMPUTE_PGM_RSRC2:USER_SGPR: 2
; COMPUTE_PGM_RSRC2:TRAP_HANDLER: 0
; COMPUTE_PGM_RSRC2:TGID_X_EN: 1
; COMPUTE_PGM_RSRC2:TGID_Y_EN: 0
; COMPUTE_PGM_RSRC2:TGID_Z_EN: 0
; COMPUTE_PGM_RSRC2:TIDIG_COMP_CNT: 0
	.section	.text._ZN9rocsparseL16conjugate_kernelILj256El21rocsparse_complex_numIdEEEvT0_PT1_,"axG",@progbits,_ZN9rocsparseL16conjugate_kernelILj256El21rocsparse_complex_numIdEEEvT0_PT1_,comdat
	.globl	_ZN9rocsparseL16conjugate_kernelILj256El21rocsparse_complex_numIdEEEvT0_PT1_ ; -- Begin function _ZN9rocsparseL16conjugate_kernelILj256El21rocsparse_complex_numIdEEEvT0_PT1_
	.p2align	8
	.type	_ZN9rocsparseL16conjugate_kernelILj256El21rocsparse_complex_numIdEEEvT0_PT1_,@function
_ZN9rocsparseL16conjugate_kernelILj256El21rocsparse_complex_numIdEEEvT0_PT1_: ; @_ZN9rocsparseL16conjugate_kernelILj256El21rocsparse_complex_numIdEEEvT0_PT1_
; %bb.0:
	s_load_b128 s[0:3], s[0:1], 0x0
	s_bfe_u32 s4, ttmp6, 0x4000c
	s_and_b32 s5, ttmp6, 15
	s_add_co_i32 s4, s4, 1
	s_getreg_b32 s6, hwreg(HW_REG_IB_STS2, 6, 4)
	s_mul_i32 s4, ttmp9, s4
	v_mov_b32_e32 v1, 0
	s_add_co_i32 s5, s5, s4
	s_cmp_eq_u32 s6, 0
	s_cselect_b32 s4, ttmp9, s5
	s_delay_alu instid0(SALU_CYCLE_1) | instskip(SKIP_1) | instid1(VALU_DEP_1)
	v_lshl_or_b32 v0, s4, 8, v0
	s_wait_kmcnt 0x0
	v_cmp_gt_i64_e32 vcc_lo, s[0:1], v[0:1]
	s_and_saveexec_b32 s0, vcc_lo
	s_cbranch_execz .LBB31_2
; %bb.1:
	v_lshl_add_u64 v[0:1], v[0:1], 4, s[2:3]
	global_load_b64 v[2:3], v[0:1], off offset:8
	s_wait_loadcnt 0x0
	v_xor_b32_e32 v3, 0x80000000, v3
	global_store_b64 v[0:1], v[2:3], off offset:8
.LBB31_2:
	s_endpgm
	.section	.rodata,"a",@progbits
	.p2align	6, 0x0
	.amdhsa_kernel _ZN9rocsparseL16conjugate_kernelILj256El21rocsparse_complex_numIdEEEvT0_PT1_
		.amdhsa_group_segment_fixed_size 0
		.amdhsa_private_segment_fixed_size 0
		.amdhsa_kernarg_size 16
		.amdhsa_user_sgpr_count 2
		.amdhsa_user_sgpr_dispatch_ptr 0
		.amdhsa_user_sgpr_queue_ptr 0
		.amdhsa_user_sgpr_kernarg_segment_ptr 1
		.amdhsa_user_sgpr_dispatch_id 0
		.amdhsa_user_sgpr_kernarg_preload_length 0
		.amdhsa_user_sgpr_kernarg_preload_offset 0
		.amdhsa_user_sgpr_private_segment_size 0
		.amdhsa_wavefront_size32 1
		.amdhsa_uses_dynamic_stack 0
		.amdhsa_enable_private_segment 0
		.amdhsa_system_sgpr_workgroup_id_x 1
		.amdhsa_system_sgpr_workgroup_id_y 0
		.amdhsa_system_sgpr_workgroup_id_z 0
		.amdhsa_system_sgpr_workgroup_info 0
		.amdhsa_system_vgpr_workitem_id 0
		.amdhsa_next_free_vgpr 4
		.amdhsa_next_free_sgpr 7
		.amdhsa_named_barrier_count 0
		.amdhsa_reserve_vcc 1
		.amdhsa_float_round_mode_32 0
		.amdhsa_float_round_mode_16_64 0
		.amdhsa_float_denorm_mode_32 3
		.amdhsa_float_denorm_mode_16_64 3
		.amdhsa_fp16_overflow 0
		.amdhsa_memory_ordered 1
		.amdhsa_forward_progress 1
		.amdhsa_inst_pref_size 1
		.amdhsa_round_robin_scheduling 0
		.amdhsa_exception_fp_ieee_invalid_op 0
		.amdhsa_exception_fp_denorm_src 0
		.amdhsa_exception_fp_ieee_div_zero 0
		.amdhsa_exception_fp_ieee_overflow 0
		.amdhsa_exception_fp_ieee_underflow 0
		.amdhsa_exception_fp_ieee_inexact 0
		.amdhsa_exception_int_div_zero 0
	.end_amdhsa_kernel
	.section	.text._ZN9rocsparseL16conjugate_kernelILj256El21rocsparse_complex_numIdEEEvT0_PT1_,"axG",@progbits,_ZN9rocsparseL16conjugate_kernelILj256El21rocsparse_complex_numIdEEEvT0_PT1_,comdat
.Lfunc_end31:
	.size	_ZN9rocsparseL16conjugate_kernelILj256El21rocsparse_complex_numIdEEEvT0_PT1_, .Lfunc_end31-_ZN9rocsparseL16conjugate_kernelILj256El21rocsparse_complex_numIdEEEvT0_PT1_
                                        ; -- End function
	.set _ZN9rocsparseL16conjugate_kernelILj256El21rocsparse_complex_numIdEEEvT0_PT1_.num_vgpr, 4
	.set _ZN9rocsparseL16conjugate_kernelILj256El21rocsparse_complex_numIdEEEvT0_PT1_.num_agpr, 0
	.set _ZN9rocsparseL16conjugate_kernelILj256El21rocsparse_complex_numIdEEEvT0_PT1_.numbered_sgpr, 7
	.set _ZN9rocsparseL16conjugate_kernelILj256El21rocsparse_complex_numIdEEEvT0_PT1_.num_named_barrier, 0
	.set _ZN9rocsparseL16conjugate_kernelILj256El21rocsparse_complex_numIdEEEvT0_PT1_.private_seg_size, 0
	.set _ZN9rocsparseL16conjugate_kernelILj256El21rocsparse_complex_numIdEEEvT0_PT1_.uses_vcc, 1
	.set _ZN9rocsparseL16conjugate_kernelILj256El21rocsparse_complex_numIdEEEvT0_PT1_.uses_flat_scratch, 0
	.set _ZN9rocsparseL16conjugate_kernelILj256El21rocsparse_complex_numIdEEEvT0_PT1_.has_dyn_sized_stack, 0
	.set _ZN9rocsparseL16conjugate_kernelILj256El21rocsparse_complex_numIdEEEvT0_PT1_.has_recursion, 0
	.set _ZN9rocsparseL16conjugate_kernelILj256El21rocsparse_complex_numIdEEEvT0_PT1_.has_indirect_call, 0
	.section	.AMDGPU.csdata,"",@progbits
; Kernel info:
; codeLenInByte = 124
; TotalNumSgprs: 9
; NumVgprs: 4
; ScratchSize: 0
; MemoryBound: 0
; FloatMode: 240
; IeeeMode: 1
; LDSByteSize: 0 bytes/workgroup (compile time only)
; SGPRBlocks: 0
; VGPRBlocks: 0
; NumSGPRsForWavesPerEU: 9
; NumVGPRsForWavesPerEU: 4
; NamedBarCnt: 0
; Occupancy: 16
; WaveLimiterHint : 0
; COMPUTE_PGM_RSRC2:SCRATCH_EN: 0
; COMPUTE_PGM_RSRC2:USER_SGPR: 2
; COMPUTE_PGM_RSRC2:TRAP_HANDLER: 0
; COMPUTE_PGM_RSRC2:TGID_X_EN: 1
; COMPUTE_PGM_RSRC2:TGID_Y_EN: 0
; COMPUTE_PGM_RSRC2:TGID_Z_EN: 0
; COMPUTE_PGM_RSRC2:TIDIG_COMP_CNT: 0
	.section	.text._ZN9rocsparseL13valset_kernelILj256EiiEEvT0_T1_PS2_,"axG",@progbits,_ZN9rocsparseL13valset_kernelILj256EiiEEvT0_T1_PS2_,comdat
	.globl	_ZN9rocsparseL13valset_kernelILj256EiiEEvT0_T1_PS2_ ; -- Begin function _ZN9rocsparseL13valset_kernelILj256EiiEEvT0_T1_PS2_
	.p2align	8
	.type	_ZN9rocsparseL13valset_kernelILj256EiiEEvT0_T1_PS2_,@function
_ZN9rocsparseL13valset_kernelILj256EiiEEvT0_T1_PS2_: ; @_ZN9rocsparseL13valset_kernelILj256EiiEEvT0_T1_PS2_
; %bb.0:
	s_load_b64 s[2:3], s[0:1], 0x0
	s_bfe_u32 s4, ttmp6, 0x4000c
	s_and_b32 s5, ttmp6, 15
	s_add_co_i32 s4, s4, 1
	s_getreg_b32 s6, hwreg(HW_REG_IB_STS2, 6, 4)
	s_mul_i32 s4, ttmp9, s4
	s_delay_alu instid0(SALU_CYCLE_1) | instskip(SKIP_2) | instid1(SALU_CYCLE_1)
	s_add_co_i32 s5, s5, s4
	s_cmp_eq_u32 s6, 0
	s_cselect_b32 s4, ttmp9, s5
	v_lshl_or_b32 v0, s4, 8, v0
	s_wait_kmcnt 0x0
	s_delay_alu instid0(VALU_DEP_1)
	v_cmp_gt_i32_e32 vcc_lo, s2, v0
	s_and_saveexec_b32 s2, vcc_lo
	s_cbranch_execz .LBB32_2
; %bb.1:
	s_load_b64 s[0:1], s[0:1], 0x8
	v_mov_b32_e32 v1, s3
	s_wait_kmcnt 0x0
	global_store_b32 v0, v1, s[0:1] scale_offset
.LBB32_2:
	s_endpgm
	.section	.rodata,"a",@progbits
	.p2align	6, 0x0
	.amdhsa_kernel _ZN9rocsparseL13valset_kernelILj256EiiEEvT0_T1_PS2_
		.amdhsa_group_segment_fixed_size 0
		.amdhsa_private_segment_fixed_size 0
		.amdhsa_kernarg_size 16
		.amdhsa_user_sgpr_count 2
		.amdhsa_user_sgpr_dispatch_ptr 0
		.amdhsa_user_sgpr_queue_ptr 0
		.amdhsa_user_sgpr_kernarg_segment_ptr 1
		.amdhsa_user_sgpr_dispatch_id 0
		.amdhsa_user_sgpr_kernarg_preload_length 0
		.amdhsa_user_sgpr_kernarg_preload_offset 0
		.amdhsa_user_sgpr_private_segment_size 0
		.amdhsa_wavefront_size32 1
		.amdhsa_uses_dynamic_stack 0
		.amdhsa_enable_private_segment 0
		.amdhsa_system_sgpr_workgroup_id_x 1
		.amdhsa_system_sgpr_workgroup_id_y 0
		.amdhsa_system_sgpr_workgroup_id_z 0
		.amdhsa_system_sgpr_workgroup_info 0
		.amdhsa_system_vgpr_workitem_id 0
		.amdhsa_next_free_vgpr 2
		.amdhsa_next_free_sgpr 7
		.amdhsa_named_barrier_count 0
		.amdhsa_reserve_vcc 1
		.amdhsa_float_round_mode_32 0
		.amdhsa_float_round_mode_16_64 0
		.amdhsa_float_denorm_mode_32 3
		.amdhsa_float_denorm_mode_16_64 3
		.amdhsa_fp16_overflow 0
		.amdhsa_memory_ordered 1
		.amdhsa_forward_progress 1
		.amdhsa_inst_pref_size 1
		.amdhsa_round_robin_scheduling 0
		.amdhsa_exception_fp_ieee_invalid_op 0
		.amdhsa_exception_fp_denorm_src 0
		.amdhsa_exception_fp_ieee_div_zero 0
		.amdhsa_exception_fp_ieee_overflow 0
		.amdhsa_exception_fp_ieee_underflow 0
		.amdhsa_exception_fp_ieee_inexact 0
		.amdhsa_exception_int_div_zero 0
	.end_amdhsa_kernel
	.section	.text._ZN9rocsparseL13valset_kernelILj256EiiEEvT0_T1_PS2_,"axG",@progbits,_ZN9rocsparseL13valset_kernelILj256EiiEEvT0_T1_PS2_,comdat
.Lfunc_end32:
	.size	_ZN9rocsparseL13valset_kernelILj256EiiEEvT0_T1_PS2_, .Lfunc_end32-_ZN9rocsparseL13valset_kernelILj256EiiEEvT0_T1_PS2_
                                        ; -- End function
	.set _ZN9rocsparseL13valset_kernelILj256EiiEEvT0_T1_PS2_.num_vgpr, 2
	.set _ZN9rocsparseL13valset_kernelILj256EiiEEvT0_T1_PS2_.num_agpr, 0
	.set _ZN9rocsparseL13valset_kernelILj256EiiEEvT0_T1_PS2_.numbered_sgpr, 7
	.set _ZN9rocsparseL13valset_kernelILj256EiiEEvT0_T1_PS2_.num_named_barrier, 0
	.set _ZN9rocsparseL13valset_kernelILj256EiiEEvT0_T1_PS2_.private_seg_size, 0
	.set _ZN9rocsparseL13valset_kernelILj256EiiEEvT0_T1_PS2_.uses_vcc, 1
	.set _ZN9rocsparseL13valset_kernelILj256EiiEEvT0_T1_PS2_.uses_flat_scratch, 0
	.set _ZN9rocsparseL13valset_kernelILj256EiiEEvT0_T1_PS2_.has_dyn_sized_stack, 0
	.set _ZN9rocsparseL13valset_kernelILj256EiiEEvT0_T1_PS2_.has_recursion, 0
	.set _ZN9rocsparseL13valset_kernelILj256EiiEEvT0_T1_PS2_.has_indirect_call, 0
	.section	.AMDGPU.csdata,"",@progbits
; Kernel info:
; codeLenInByte = 108
; TotalNumSgprs: 9
; NumVgprs: 2
; ScratchSize: 0
; MemoryBound: 0
; FloatMode: 240
; IeeeMode: 1
; LDSByteSize: 0 bytes/workgroup (compile time only)
; SGPRBlocks: 0
; VGPRBlocks: 0
; NumSGPRsForWavesPerEU: 9
; NumVGPRsForWavesPerEU: 2
; NamedBarCnt: 0
; Occupancy: 16
; WaveLimiterHint : 0
; COMPUTE_PGM_RSRC2:SCRATCH_EN: 0
; COMPUTE_PGM_RSRC2:USER_SGPR: 2
; COMPUTE_PGM_RSRC2:TRAP_HANDLER: 0
; COMPUTE_PGM_RSRC2:TGID_X_EN: 1
; COMPUTE_PGM_RSRC2:TGID_Y_EN: 0
; COMPUTE_PGM_RSRC2:TGID_Z_EN: 0
; COMPUTE_PGM_RSRC2:TIDIG_COMP_CNT: 0
	.section	.text._ZN9rocsparseL13valset_kernelILj256EilEEvT0_T1_PS2_,"axG",@progbits,_ZN9rocsparseL13valset_kernelILj256EilEEvT0_T1_PS2_,comdat
	.globl	_ZN9rocsparseL13valset_kernelILj256EilEEvT0_T1_PS2_ ; -- Begin function _ZN9rocsparseL13valset_kernelILj256EilEEvT0_T1_PS2_
	.p2align	8
	.type	_ZN9rocsparseL13valset_kernelILj256EilEEvT0_T1_PS2_,@function
_ZN9rocsparseL13valset_kernelILj256EilEEvT0_T1_PS2_: ; @_ZN9rocsparseL13valset_kernelILj256EilEEvT0_T1_PS2_
; %bb.0:
	s_load_b32 s2, s[0:1], 0x0
	s_bfe_u32 s3, ttmp6, 0x4000c
	s_and_b32 s4, ttmp6, 15
	s_add_co_i32 s3, s3, 1
	s_getreg_b32 s5, hwreg(HW_REG_IB_STS2, 6, 4)
	s_mul_i32 s3, ttmp9, s3
	s_delay_alu instid0(SALU_CYCLE_1) | instskip(SKIP_2) | instid1(SALU_CYCLE_1)
	s_add_co_i32 s4, s4, s3
	s_cmp_eq_u32 s5, 0
	s_cselect_b32 s3, ttmp9, s4
	v_lshl_or_b32 v0, s3, 8, v0
	s_wait_kmcnt 0x0
	s_delay_alu instid0(VALU_DEP_1)
	v_cmp_gt_i32_e32 vcc_lo, s2, v0
	s_and_saveexec_b32 s2, vcc_lo
	s_cbranch_execz .LBB33_2
; %bb.1:
	s_load_b128 s[4:7], s[0:1], 0x8
	s_wait_kmcnt 0x0
	v_dual_mov_b32 v2, s4 :: v_dual_mov_b32 v3, s5
	global_store_b64 v0, v[2:3], s[6:7] scale_offset
.LBB33_2:
	s_endpgm
	.section	.rodata,"a",@progbits
	.p2align	6, 0x0
	.amdhsa_kernel _ZN9rocsparseL13valset_kernelILj256EilEEvT0_T1_PS2_
		.amdhsa_group_segment_fixed_size 0
		.amdhsa_private_segment_fixed_size 0
		.amdhsa_kernarg_size 24
		.amdhsa_user_sgpr_count 2
		.amdhsa_user_sgpr_dispatch_ptr 0
		.amdhsa_user_sgpr_queue_ptr 0
		.amdhsa_user_sgpr_kernarg_segment_ptr 1
		.amdhsa_user_sgpr_dispatch_id 0
		.amdhsa_user_sgpr_kernarg_preload_length 0
		.amdhsa_user_sgpr_kernarg_preload_offset 0
		.amdhsa_user_sgpr_private_segment_size 0
		.amdhsa_wavefront_size32 1
		.amdhsa_uses_dynamic_stack 0
		.amdhsa_enable_private_segment 0
		.amdhsa_system_sgpr_workgroup_id_x 1
		.amdhsa_system_sgpr_workgroup_id_y 0
		.amdhsa_system_sgpr_workgroup_id_z 0
		.amdhsa_system_sgpr_workgroup_info 0
		.amdhsa_system_vgpr_workitem_id 0
		.amdhsa_next_free_vgpr 4
		.amdhsa_next_free_sgpr 8
		.amdhsa_named_barrier_count 0
		.amdhsa_reserve_vcc 1
		.amdhsa_float_round_mode_32 0
		.amdhsa_float_round_mode_16_64 0
		.amdhsa_float_denorm_mode_32 3
		.amdhsa_float_denorm_mode_16_64 3
		.amdhsa_fp16_overflow 0
		.amdhsa_memory_ordered 1
		.amdhsa_forward_progress 1
		.amdhsa_inst_pref_size 1
		.amdhsa_round_robin_scheduling 0
		.amdhsa_exception_fp_ieee_invalid_op 0
		.amdhsa_exception_fp_denorm_src 0
		.amdhsa_exception_fp_ieee_div_zero 0
		.amdhsa_exception_fp_ieee_overflow 0
		.amdhsa_exception_fp_ieee_underflow 0
		.amdhsa_exception_fp_ieee_inexact 0
		.amdhsa_exception_int_div_zero 0
	.end_amdhsa_kernel
	.section	.text._ZN9rocsparseL13valset_kernelILj256EilEEvT0_T1_PS2_,"axG",@progbits,_ZN9rocsparseL13valset_kernelILj256EilEEvT0_T1_PS2_,comdat
.Lfunc_end33:
	.size	_ZN9rocsparseL13valset_kernelILj256EilEEvT0_T1_PS2_, .Lfunc_end33-_ZN9rocsparseL13valset_kernelILj256EilEEvT0_T1_PS2_
                                        ; -- End function
	.set _ZN9rocsparseL13valset_kernelILj256EilEEvT0_T1_PS2_.num_vgpr, 4
	.set _ZN9rocsparseL13valset_kernelILj256EilEEvT0_T1_PS2_.num_agpr, 0
	.set _ZN9rocsparseL13valset_kernelILj256EilEEvT0_T1_PS2_.numbered_sgpr, 8
	.set _ZN9rocsparseL13valset_kernelILj256EilEEvT0_T1_PS2_.num_named_barrier, 0
	.set _ZN9rocsparseL13valset_kernelILj256EilEEvT0_T1_PS2_.private_seg_size, 0
	.set _ZN9rocsparseL13valset_kernelILj256EilEEvT0_T1_PS2_.uses_vcc, 1
	.set _ZN9rocsparseL13valset_kernelILj256EilEEvT0_T1_PS2_.uses_flat_scratch, 0
	.set _ZN9rocsparseL13valset_kernelILj256EilEEvT0_T1_PS2_.has_dyn_sized_stack, 0
	.set _ZN9rocsparseL13valset_kernelILj256EilEEvT0_T1_PS2_.has_recursion, 0
	.set _ZN9rocsparseL13valset_kernelILj256EilEEvT0_T1_PS2_.has_indirect_call, 0
	.section	.AMDGPU.csdata,"",@progbits
; Kernel info:
; codeLenInByte = 112
; TotalNumSgprs: 10
; NumVgprs: 4
; ScratchSize: 0
; MemoryBound: 0
; FloatMode: 240
; IeeeMode: 1
; LDSByteSize: 0 bytes/workgroup (compile time only)
; SGPRBlocks: 0
; VGPRBlocks: 0
; NumSGPRsForWavesPerEU: 10
; NumVGPRsForWavesPerEU: 4
; NamedBarCnt: 0
; Occupancy: 16
; WaveLimiterHint : 0
; COMPUTE_PGM_RSRC2:SCRATCH_EN: 0
; COMPUTE_PGM_RSRC2:USER_SGPR: 2
; COMPUTE_PGM_RSRC2:TRAP_HANDLER: 0
; COMPUTE_PGM_RSRC2:TGID_X_EN: 1
; COMPUTE_PGM_RSRC2:TGID_Y_EN: 0
; COMPUTE_PGM_RSRC2:TGID_Z_EN: 0
; COMPUTE_PGM_RSRC2:TIDIG_COMP_CNT: 0
	.section	.text._ZN9rocsparseL13valset_kernelILj256EliEEvT0_T1_PS2_,"axG",@progbits,_ZN9rocsparseL13valset_kernelILj256EliEEvT0_T1_PS2_,comdat
	.globl	_ZN9rocsparseL13valset_kernelILj256EliEEvT0_T1_PS2_ ; -- Begin function _ZN9rocsparseL13valset_kernelILj256EliEEvT0_T1_PS2_
	.p2align	8
	.type	_ZN9rocsparseL13valset_kernelILj256EliEEvT0_T1_PS2_,@function
_ZN9rocsparseL13valset_kernelILj256EliEEvT0_T1_PS2_: ; @_ZN9rocsparseL13valset_kernelILj256EliEEvT0_T1_PS2_
; %bb.0:
	s_load_b64 s[2:3], s[0:1], 0x0
	s_bfe_u32 s4, ttmp6, 0x4000c
	s_and_b32 s5, ttmp6, 15
	s_add_co_i32 s4, s4, 1
	s_getreg_b32 s6, hwreg(HW_REG_IB_STS2, 6, 4)
	s_mul_i32 s4, ttmp9, s4
	v_mov_b32_e32 v1, 0
	s_add_co_i32 s5, s5, s4
	s_cmp_eq_u32 s6, 0
	s_cselect_b32 s4, ttmp9, s5
	s_delay_alu instid0(SALU_CYCLE_1) | instskip(SKIP_1) | instid1(VALU_DEP_1)
	v_lshl_or_b32 v0, s4, 8, v0
	s_wait_kmcnt 0x0
	v_cmp_gt_i64_e32 vcc_lo, s[2:3], v[0:1]
	s_and_saveexec_b32 s2, vcc_lo
	s_cbranch_execz .LBB34_2
; %bb.1:
	s_clause 0x1
	s_load_b64 s[2:3], s[0:1], 0x10
	s_load_b32 s4, s[0:1], 0x8
	s_wait_kmcnt 0x0
	v_lshl_add_u64 v[0:1], v[0:1], 2, s[2:3]
	v_mov_b32_e32 v2, s4
	global_store_b32 v[0:1], v2, off
.LBB34_2:
	s_endpgm
	.section	.rodata,"a",@progbits
	.p2align	6, 0x0
	.amdhsa_kernel _ZN9rocsparseL13valset_kernelILj256EliEEvT0_T1_PS2_
		.amdhsa_group_segment_fixed_size 0
		.amdhsa_private_segment_fixed_size 0
		.amdhsa_kernarg_size 24
		.amdhsa_user_sgpr_count 2
		.amdhsa_user_sgpr_dispatch_ptr 0
		.amdhsa_user_sgpr_queue_ptr 0
		.amdhsa_user_sgpr_kernarg_segment_ptr 1
		.amdhsa_user_sgpr_dispatch_id 0
		.amdhsa_user_sgpr_kernarg_preload_length 0
		.amdhsa_user_sgpr_kernarg_preload_offset 0
		.amdhsa_user_sgpr_private_segment_size 0
		.amdhsa_wavefront_size32 1
		.amdhsa_uses_dynamic_stack 0
		.amdhsa_enable_private_segment 0
		.amdhsa_system_sgpr_workgroup_id_x 1
		.amdhsa_system_sgpr_workgroup_id_y 0
		.amdhsa_system_sgpr_workgroup_id_z 0
		.amdhsa_system_sgpr_workgroup_info 0
		.amdhsa_system_vgpr_workitem_id 0
		.amdhsa_next_free_vgpr 3
		.amdhsa_next_free_sgpr 7
		.amdhsa_named_barrier_count 0
		.amdhsa_reserve_vcc 1
		.amdhsa_float_round_mode_32 0
		.amdhsa_float_round_mode_16_64 0
		.amdhsa_float_denorm_mode_32 3
		.amdhsa_float_denorm_mode_16_64 3
		.amdhsa_fp16_overflow 0
		.amdhsa_memory_ordered 1
		.amdhsa_forward_progress 1
		.amdhsa_inst_pref_size 1
		.amdhsa_round_robin_scheduling 0
		.amdhsa_exception_fp_ieee_invalid_op 0
		.amdhsa_exception_fp_denorm_src 0
		.amdhsa_exception_fp_ieee_div_zero 0
		.amdhsa_exception_fp_ieee_overflow 0
		.amdhsa_exception_fp_ieee_underflow 0
		.amdhsa_exception_fp_ieee_inexact 0
		.amdhsa_exception_int_div_zero 0
	.end_amdhsa_kernel
	.section	.text._ZN9rocsparseL13valset_kernelILj256EliEEvT0_T1_PS2_,"axG",@progbits,_ZN9rocsparseL13valset_kernelILj256EliEEvT0_T1_PS2_,comdat
.Lfunc_end34:
	.size	_ZN9rocsparseL13valset_kernelILj256EliEEvT0_T1_PS2_, .Lfunc_end34-_ZN9rocsparseL13valset_kernelILj256EliEEvT0_T1_PS2_
                                        ; -- End function
	.set _ZN9rocsparseL13valset_kernelILj256EliEEvT0_T1_PS2_.num_vgpr, 3
	.set _ZN9rocsparseL13valset_kernelILj256EliEEvT0_T1_PS2_.num_agpr, 0
	.set _ZN9rocsparseL13valset_kernelILj256EliEEvT0_T1_PS2_.numbered_sgpr, 7
	.set _ZN9rocsparseL13valset_kernelILj256EliEEvT0_T1_PS2_.num_named_barrier, 0
	.set _ZN9rocsparseL13valset_kernelILj256EliEEvT0_T1_PS2_.private_seg_size, 0
	.set _ZN9rocsparseL13valset_kernelILj256EliEEvT0_T1_PS2_.uses_vcc, 1
	.set _ZN9rocsparseL13valset_kernelILj256EliEEvT0_T1_PS2_.uses_flat_scratch, 0
	.set _ZN9rocsparseL13valset_kernelILj256EliEEvT0_T1_PS2_.has_dyn_sized_stack, 0
	.set _ZN9rocsparseL13valset_kernelILj256EliEEvT0_T1_PS2_.has_recursion, 0
	.set _ZN9rocsparseL13valset_kernelILj256EliEEvT0_T1_PS2_.has_indirect_call, 0
	.section	.AMDGPU.csdata,"",@progbits
; Kernel info:
; codeLenInByte = 128
; TotalNumSgprs: 9
; NumVgprs: 3
; ScratchSize: 0
; MemoryBound: 0
; FloatMode: 240
; IeeeMode: 1
; LDSByteSize: 0 bytes/workgroup (compile time only)
; SGPRBlocks: 0
; VGPRBlocks: 0
; NumSGPRsForWavesPerEU: 9
; NumVGPRsForWavesPerEU: 3
; NamedBarCnt: 0
; Occupancy: 16
; WaveLimiterHint : 0
; COMPUTE_PGM_RSRC2:SCRATCH_EN: 0
; COMPUTE_PGM_RSRC2:USER_SGPR: 2
; COMPUTE_PGM_RSRC2:TRAP_HANDLER: 0
; COMPUTE_PGM_RSRC2:TGID_X_EN: 1
; COMPUTE_PGM_RSRC2:TGID_Y_EN: 0
; COMPUTE_PGM_RSRC2:TGID_Z_EN: 0
; COMPUTE_PGM_RSRC2:TIDIG_COMP_CNT: 0
	.section	.text._ZN9rocsparseL13valset_kernelILj256EllEEvT0_T1_PS2_,"axG",@progbits,_ZN9rocsparseL13valset_kernelILj256EllEEvT0_T1_PS2_,comdat
	.globl	_ZN9rocsparseL13valset_kernelILj256EllEEvT0_T1_PS2_ ; -- Begin function _ZN9rocsparseL13valset_kernelILj256EllEEvT0_T1_PS2_
	.p2align	8
	.type	_ZN9rocsparseL13valset_kernelILj256EllEEvT0_T1_PS2_,@function
_ZN9rocsparseL13valset_kernelILj256EllEEvT0_T1_PS2_: ; @_ZN9rocsparseL13valset_kernelILj256EllEEvT0_T1_PS2_
; %bb.0:
	s_load_b128 s[4:7], s[0:1], 0x0
	s_bfe_u32 s2, ttmp6, 0x4000c
	s_and_b32 s3, ttmp6, 15
	s_add_co_i32 s2, s2, 1
	s_getreg_b32 s8, hwreg(HW_REG_IB_STS2, 6, 4)
	s_mul_i32 s2, ttmp9, s2
	v_mov_b32_e32 v1, 0
	s_add_co_i32 s3, s3, s2
	s_cmp_eq_u32 s8, 0
	s_cselect_b32 s2, ttmp9, s3
	s_delay_alu instid0(SALU_CYCLE_1) | instskip(SKIP_2) | instid1(VALU_DEP_1)
	v_lshl_or_b32 v0, s2, 8, v0
	s_mov_b32 s2, exec_lo
	s_wait_kmcnt 0x0
	v_cmpx_gt_i64_e64 s[4:5], v[0:1]
	s_cbranch_execz .LBB35_2
; %bb.1:
	s_load_b64 s[0:1], s[0:1], 0x10
	v_dual_mov_b32 v2, s6 :: v_dual_mov_b32 v3, s7
	s_wait_kmcnt 0x0
	v_lshl_add_u64 v[0:1], v[0:1], 3, s[0:1]
	global_store_b64 v[0:1], v[2:3], off
.LBB35_2:
	s_endpgm
	.section	.rodata,"a",@progbits
	.p2align	6, 0x0
	.amdhsa_kernel _ZN9rocsparseL13valset_kernelILj256EllEEvT0_T1_PS2_
		.amdhsa_group_segment_fixed_size 0
		.amdhsa_private_segment_fixed_size 0
		.amdhsa_kernarg_size 24
		.amdhsa_user_sgpr_count 2
		.amdhsa_user_sgpr_dispatch_ptr 0
		.amdhsa_user_sgpr_queue_ptr 0
		.amdhsa_user_sgpr_kernarg_segment_ptr 1
		.amdhsa_user_sgpr_dispatch_id 0
		.amdhsa_user_sgpr_kernarg_preload_length 0
		.amdhsa_user_sgpr_kernarg_preload_offset 0
		.amdhsa_user_sgpr_private_segment_size 0
		.amdhsa_wavefront_size32 1
		.amdhsa_uses_dynamic_stack 0
		.amdhsa_enable_private_segment 0
		.amdhsa_system_sgpr_workgroup_id_x 1
		.amdhsa_system_sgpr_workgroup_id_y 0
		.amdhsa_system_sgpr_workgroup_id_z 0
		.amdhsa_system_sgpr_workgroup_info 0
		.amdhsa_system_vgpr_workitem_id 0
		.amdhsa_next_free_vgpr 4
		.amdhsa_next_free_sgpr 9
		.amdhsa_named_barrier_count 0
		.amdhsa_reserve_vcc 0
		.amdhsa_float_round_mode_32 0
		.amdhsa_float_round_mode_16_64 0
		.amdhsa_float_denorm_mode_32 3
		.amdhsa_float_denorm_mode_16_64 3
		.amdhsa_fp16_overflow 0
		.amdhsa_memory_ordered 1
		.amdhsa_forward_progress 1
		.amdhsa_inst_pref_size 1
		.amdhsa_round_robin_scheduling 0
		.amdhsa_exception_fp_ieee_invalid_op 0
		.amdhsa_exception_fp_denorm_src 0
		.amdhsa_exception_fp_ieee_div_zero 0
		.amdhsa_exception_fp_ieee_overflow 0
		.amdhsa_exception_fp_ieee_underflow 0
		.amdhsa_exception_fp_ieee_inexact 0
		.amdhsa_exception_int_div_zero 0
	.end_amdhsa_kernel
	.section	.text._ZN9rocsparseL13valset_kernelILj256EllEEvT0_T1_PS2_,"axG",@progbits,_ZN9rocsparseL13valset_kernelILj256EllEEvT0_T1_PS2_,comdat
.Lfunc_end35:
	.size	_ZN9rocsparseL13valset_kernelILj256EllEEvT0_T1_PS2_, .Lfunc_end35-_ZN9rocsparseL13valset_kernelILj256EllEEvT0_T1_PS2_
                                        ; -- End function
	.set _ZN9rocsparseL13valset_kernelILj256EllEEvT0_T1_PS2_.num_vgpr, 4
	.set _ZN9rocsparseL13valset_kernelILj256EllEEvT0_T1_PS2_.num_agpr, 0
	.set _ZN9rocsparseL13valset_kernelILj256EllEEvT0_T1_PS2_.numbered_sgpr, 9
	.set _ZN9rocsparseL13valset_kernelILj256EllEEvT0_T1_PS2_.num_named_barrier, 0
	.set _ZN9rocsparseL13valset_kernelILj256EllEEvT0_T1_PS2_.private_seg_size, 0
	.set _ZN9rocsparseL13valset_kernelILj256EllEEvT0_T1_PS2_.uses_vcc, 0
	.set _ZN9rocsparseL13valset_kernelILj256EllEEvT0_T1_PS2_.uses_flat_scratch, 0
	.set _ZN9rocsparseL13valset_kernelILj256EllEEvT0_T1_PS2_.has_dyn_sized_stack, 0
	.set _ZN9rocsparseL13valset_kernelILj256EllEEvT0_T1_PS2_.has_recursion, 0
	.set _ZN9rocsparseL13valset_kernelILj256EllEEvT0_T1_PS2_.has_indirect_call, 0
	.section	.AMDGPU.csdata,"",@progbits
; Kernel info:
; codeLenInByte = 124
; TotalNumSgprs: 9
; NumVgprs: 4
; ScratchSize: 0
; MemoryBound: 0
; FloatMode: 240
; IeeeMode: 1
; LDSByteSize: 0 bytes/workgroup (compile time only)
; SGPRBlocks: 0
; VGPRBlocks: 0
; NumSGPRsForWavesPerEU: 9
; NumVGPRsForWavesPerEU: 4
; NamedBarCnt: 0
; Occupancy: 16
; WaveLimiterHint : 0
; COMPUTE_PGM_RSRC2:SCRATCH_EN: 0
; COMPUTE_PGM_RSRC2:USER_SGPR: 2
; COMPUTE_PGM_RSRC2:TRAP_HANDLER: 0
; COMPUTE_PGM_RSRC2:TGID_X_EN: 1
; COMPUTE_PGM_RSRC2:TGID_Y_EN: 0
; COMPUTE_PGM_RSRC2:TGID_Z_EN: 0
; COMPUTE_PGM_RSRC2:TIDIG_COMP_CNT: 0
	.section	.text._ZN9rocsparseL16valset_2d_kernelILj256EiDF16_EEvT0_S1_lT1_PS2_16rocsparse_order_,"axG",@progbits,_ZN9rocsparseL16valset_2d_kernelILj256EiDF16_EEvT0_S1_lT1_PS2_16rocsparse_order_,comdat
	.globl	_ZN9rocsparseL16valset_2d_kernelILj256EiDF16_EEvT0_S1_lT1_PS2_16rocsparse_order_ ; -- Begin function _ZN9rocsparseL16valset_2d_kernelILj256EiDF16_EEvT0_S1_lT1_PS2_16rocsparse_order_
	.p2align	8
	.type	_ZN9rocsparseL16valset_2d_kernelILj256EiDF16_EEvT0_S1_lT1_PS2_16rocsparse_order_,@function
_ZN9rocsparseL16valset_2d_kernelILj256EiDF16_EEvT0_S1_lT1_PS2_16rocsparse_order_: ; @_ZN9rocsparseL16valset_2d_kernelILj256EiDF16_EEvT0_S1_lT1_PS2_16rocsparse_order_
; %bb.0:
	s_load_b64 s[2:3], s[0:1], 0x0
	s_bfe_u32 s4, ttmp6, 0x4000c
	s_and_b32 s5, ttmp6, 15
	s_add_co_i32 s4, s4, 1
	s_getreg_b32 s6, hwreg(HW_REG_IB_STS2, 6, 4)
	s_mul_i32 s4, ttmp9, s4
	s_delay_alu instid0(SALU_CYCLE_1) | instskip(SKIP_2) | instid1(SALU_CYCLE_1)
	s_add_co_i32 s5, s5, s4
	s_cmp_eq_u32 s6, 0
	s_cselect_b32 s4, ttmp9, s5
	v_lshl_or_b32 v0, s4, 8, v0
	s_wait_kmcnt 0x0
	s_mul_i32 s4, s3, s2
	s_delay_alu instid0(VALU_DEP_1) | instid1(SALU_CYCLE_1)
	v_cmp_gt_i32_e32 vcc_lo, s4, v0
	s_and_saveexec_b32 s4, vcc_lo
	s_cbranch_execz .LBB36_2
; %bb.1:
	s_clause 0x1
	s_load_b96 s[4:6], s[0:1], 0x18
	s_load_b96 s[8:10], s[0:1], 0x8
	s_wait_kmcnt 0x0
	s_cmp_eq_u32 s6, 1
	s_cselect_b32 s2, s2, s3
	s_delay_alu instid0(SALU_CYCLE_1) | instskip(NEXT) | instid1(SALU_CYCLE_1)
	s_abs_i32 s3, s2
	s_cvt_f32_u32 s6, s3
	s_sub_co_i32 s7, 0, s3
	s_delay_alu instid0(SALU_CYCLE_2) | instskip(SKIP_1) | instid1(TRANS32_DEP_1)
	v_rcp_iflag_f32_e32 v1, s6
	v_nop
	v_readfirstlane_b32 s6, v1
	v_sub_nc_u32_e32 v1, 0, v0
	s_mul_f32 s6, s6, 0x4f7ffffe
	s_delay_alu instid0(VALU_DEP_1) | instskip(NEXT) | instid1(SALU_CYCLE_2)
	v_max_i32_e32 v1, v0, v1
	s_cvt_u32_f32 s6, s6
	s_delay_alu instid0(SALU_CYCLE_3) | instskip(NEXT) | instid1(SALU_CYCLE_1)
	s_mul_i32 s7, s7, s6
	s_mul_hi_u32 s7, s6, s7
	s_delay_alu instid0(SALU_CYCLE_1) | instskip(NEXT) | instid1(SALU_CYCLE_1)
	s_add_co_i32 s6, s6, s7
	v_mul_hi_u32 v2, v1, s6
	s_delay_alu instid0(VALU_DEP_1) | instskip(NEXT) | instid1(VALU_DEP_1)
	v_mul_lo_u32 v3, v2, s3
	v_dual_sub_nc_u32 v1, v1, v3 :: v_dual_add_nc_u32 v3, 1, v2
	s_delay_alu instid0(VALU_DEP_1) | instskip(NEXT) | instid1(VALU_DEP_2)
	v_cmp_le_u32_e32 vcc_lo, s3, v1
	v_dual_cndmask_b32 v2, v2, v3, vcc_lo :: v_dual_bitop2_b32 v3, s2, v0 bitop3:0x14
	v_subrev_nc_u32_e32 v4, s3, v1
	s_delay_alu instid0(VALU_DEP_1) | instskip(NEXT) | instid1(VALU_DEP_1)
	v_dual_cndmask_b32 v1, v1, v4 :: v_dual_add_nc_u32 v4, 1, v2
	v_cmp_le_u32_e32 vcc_lo, s3, v1
	s_delay_alu instid0(VALU_DEP_2) | instskip(NEXT) | instid1(VALU_DEP_1)
	v_dual_ashrrev_i32 v3, 31, v3 :: v_dual_cndmask_b32 v1, v2, v4, vcc_lo
	v_xor_b32_e32 v1, v1, v3
	s_delay_alu instid0(VALU_DEP_1) | instskip(NEXT) | instid1(VALU_DEP_1)
	v_sub_nc_u32_e32 v2, v1, v3
	v_mul_lo_u32 v1, v2, s2
	s_delay_alu instid0(VALU_DEP_1) | instskip(NEXT) | instid1(VALU_DEP_1)
	v_dual_sub_nc_u32 v0, v0, v1 :: v_dual_ashrrev_i32 v3, 31, v2
	v_ashrrev_i32_e32 v1, 31, v0
	s_delay_alu instid0(VALU_DEP_2) | instskip(NEXT) | instid1(VALU_DEP_1)
	v_mul_u64_e32 v[4:5], s[8:9], v[2:3]
	v_lshl_add_u64 v[2:3], v[4:5], 1, s[4:5]
	s_delay_alu instid0(VALU_DEP_1)
	v_lshl_add_u64 v[0:1], v[0:1], 1, v[2:3]
	v_mov_b32_e32 v2, s10
	global_store_b16 v[0:1], v2, off
.LBB36_2:
	s_endpgm
	.section	.rodata,"a",@progbits
	.p2align	6, 0x0
	.amdhsa_kernel _ZN9rocsparseL16valset_2d_kernelILj256EiDF16_EEvT0_S1_lT1_PS2_16rocsparse_order_
		.amdhsa_group_segment_fixed_size 0
		.amdhsa_private_segment_fixed_size 0
		.amdhsa_kernarg_size 36
		.amdhsa_user_sgpr_count 2
		.amdhsa_user_sgpr_dispatch_ptr 0
		.amdhsa_user_sgpr_queue_ptr 0
		.amdhsa_user_sgpr_kernarg_segment_ptr 1
		.amdhsa_user_sgpr_dispatch_id 0
		.amdhsa_user_sgpr_kernarg_preload_length 0
		.amdhsa_user_sgpr_kernarg_preload_offset 0
		.amdhsa_user_sgpr_private_segment_size 0
		.amdhsa_wavefront_size32 1
		.amdhsa_uses_dynamic_stack 0
		.amdhsa_enable_private_segment 0
		.amdhsa_system_sgpr_workgroup_id_x 1
		.amdhsa_system_sgpr_workgroup_id_y 0
		.amdhsa_system_sgpr_workgroup_id_z 0
		.amdhsa_system_sgpr_workgroup_info 0
		.amdhsa_system_vgpr_workitem_id 0
		.amdhsa_next_free_vgpr 6
		.amdhsa_next_free_sgpr 11
		.amdhsa_named_barrier_count 0
		.amdhsa_reserve_vcc 1
		.amdhsa_float_round_mode_32 0
		.amdhsa_float_round_mode_16_64 0
		.amdhsa_float_denorm_mode_32 3
		.amdhsa_float_denorm_mode_16_64 3
		.amdhsa_fp16_overflow 0
		.amdhsa_memory_ordered 1
		.amdhsa_forward_progress 1
		.amdhsa_inst_pref_size 3
		.amdhsa_round_robin_scheduling 0
		.amdhsa_exception_fp_ieee_invalid_op 0
		.amdhsa_exception_fp_denorm_src 0
		.amdhsa_exception_fp_ieee_div_zero 0
		.amdhsa_exception_fp_ieee_overflow 0
		.amdhsa_exception_fp_ieee_underflow 0
		.amdhsa_exception_fp_ieee_inexact 0
		.amdhsa_exception_int_div_zero 0
	.end_amdhsa_kernel
	.section	.text._ZN9rocsparseL16valset_2d_kernelILj256EiDF16_EEvT0_S1_lT1_PS2_16rocsparse_order_,"axG",@progbits,_ZN9rocsparseL16valset_2d_kernelILj256EiDF16_EEvT0_S1_lT1_PS2_16rocsparse_order_,comdat
.Lfunc_end36:
	.size	_ZN9rocsparseL16valset_2d_kernelILj256EiDF16_EEvT0_S1_lT1_PS2_16rocsparse_order_, .Lfunc_end36-_ZN9rocsparseL16valset_2d_kernelILj256EiDF16_EEvT0_S1_lT1_PS2_16rocsparse_order_
                                        ; -- End function
	.set _ZN9rocsparseL16valset_2d_kernelILj256EiDF16_EEvT0_S1_lT1_PS2_16rocsparse_order_.num_vgpr, 6
	.set _ZN9rocsparseL16valset_2d_kernelILj256EiDF16_EEvT0_S1_lT1_PS2_16rocsparse_order_.num_agpr, 0
	.set _ZN9rocsparseL16valset_2d_kernelILj256EiDF16_EEvT0_S1_lT1_PS2_16rocsparse_order_.numbered_sgpr, 11
	.set _ZN9rocsparseL16valset_2d_kernelILj256EiDF16_EEvT0_S1_lT1_PS2_16rocsparse_order_.num_named_barrier, 0
	.set _ZN9rocsparseL16valset_2d_kernelILj256EiDF16_EEvT0_S1_lT1_PS2_16rocsparse_order_.private_seg_size, 0
	.set _ZN9rocsparseL16valset_2d_kernelILj256EiDF16_EEvT0_S1_lT1_PS2_16rocsparse_order_.uses_vcc, 1
	.set _ZN9rocsparseL16valset_2d_kernelILj256EiDF16_EEvT0_S1_lT1_PS2_16rocsparse_order_.uses_flat_scratch, 0
	.set _ZN9rocsparseL16valset_2d_kernelILj256EiDF16_EEvT0_S1_lT1_PS2_16rocsparse_order_.has_dyn_sized_stack, 0
	.set _ZN9rocsparseL16valset_2d_kernelILj256EiDF16_EEvT0_S1_lT1_PS2_16rocsparse_order_.has_recursion, 0
	.set _ZN9rocsparseL16valset_2d_kernelILj256EiDF16_EEvT0_S1_lT1_PS2_16rocsparse_order_.has_indirect_call, 0
	.section	.AMDGPU.csdata,"",@progbits
; Kernel info:
; codeLenInByte = 364
; TotalNumSgprs: 13
; NumVgprs: 6
; ScratchSize: 0
; MemoryBound: 0
; FloatMode: 240
; IeeeMode: 1
; LDSByteSize: 0 bytes/workgroup (compile time only)
; SGPRBlocks: 0
; VGPRBlocks: 0
; NumSGPRsForWavesPerEU: 13
; NumVGPRsForWavesPerEU: 6
; NamedBarCnt: 0
; Occupancy: 16
; WaveLimiterHint : 0
; COMPUTE_PGM_RSRC2:SCRATCH_EN: 0
; COMPUTE_PGM_RSRC2:USER_SGPR: 2
; COMPUTE_PGM_RSRC2:TRAP_HANDLER: 0
; COMPUTE_PGM_RSRC2:TGID_X_EN: 1
; COMPUTE_PGM_RSRC2:TGID_Y_EN: 0
; COMPUTE_PGM_RSRC2:TGID_Z_EN: 0
; COMPUTE_PGM_RSRC2:TIDIG_COMP_CNT: 0
	.section	.text._ZN9rocsparseL16valset_2d_kernelILj256Ei18rocsparse_bfloat16EEvT0_S2_lT1_PS3_16rocsparse_order_,"axG",@progbits,_ZN9rocsparseL16valset_2d_kernelILj256Ei18rocsparse_bfloat16EEvT0_S2_lT1_PS3_16rocsparse_order_,comdat
	.globl	_ZN9rocsparseL16valset_2d_kernelILj256Ei18rocsparse_bfloat16EEvT0_S2_lT1_PS3_16rocsparse_order_ ; -- Begin function _ZN9rocsparseL16valset_2d_kernelILj256Ei18rocsparse_bfloat16EEvT0_S2_lT1_PS3_16rocsparse_order_
	.p2align	8
	.type	_ZN9rocsparseL16valset_2d_kernelILj256Ei18rocsparse_bfloat16EEvT0_S2_lT1_PS3_16rocsparse_order_,@function
_ZN9rocsparseL16valset_2d_kernelILj256Ei18rocsparse_bfloat16EEvT0_S2_lT1_PS3_16rocsparse_order_: ; @_ZN9rocsparseL16valset_2d_kernelILj256Ei18rocsparse_bfloat16EEvT0_S2_lT1_PS3_16rocsparse_order_
; %bb.0:
	s_load_b64 s[2:3], s[0:1], 0x0
	s_bfe_u32 s4, ttmp6, 0x4000c
	s_and_b32 s5, ttmp6, 15
	s_add_co_i32 s4, s4, 1
	s_getreg_b32 s6, hwreg(HW_REG_IB_STS2, 6, 4)
	s_mul_i32 s4, ttmp9, s4
	s_delay_alu instid0(SALU_CYCLE_1) | instskip(SKIP_2) | instid1(SALU_CYCLE_1)
	s_add_co_i32 s5, s5, s4
	s_cmp_eq_u32 s6, 0
	s_cselect_b32 s4, ttmp9, s5
	v_lshl_or_b32 v0, s4, 8, v0
	s_wait_kmcnt 0x0
	s_mul_i32 s4, s3, s2
	s_delay_alu instid0(VALU_DEP_1) | instid1(SALU_CYCLE_1)
	v_cmp_gt_i32_e32 vcc_lo, s4, v0
	s_and_saveexec_b32 s4, vcc_lo
	s_cbranch_execz .LBB37_2
; %bb.1:
	s_clause 0x1
	s_load_b96 s[4:6], s[0:1], 0x18
	s_load_b96 s[8:10], s[0:1], 0x8
	s_wait_kmcnt 0x0
	s_cmp_eq_u32 s6, 1
	s_cselect_b32 s2, s2, s3
	s_delay_alu instid0(SALU_CYCLE_1) | instskip(NEXT) | instid1(SALU_CYCLE_1)
	s_abs_i32 s3, s2
	s_cvt_f32_u32 s6, s3
	s_sub_co_i32 s7, 0, s3
	s_delay_alu instid0(SALU_CYCLE_2) | instskip(SKIP_1) | instid1(TRANS32_DEP_1)
	v_rcp_iflag_f32_e32 v1, s6
	v_nop
	v_readfirstlane_b32 s6, v1
	v_sub_nc_u32_e32 v1, 0, v0
	s_mul_f32 s6, s6, 0x4f7ffffe
	s_delay_alu instid0(VALU_DEP_1) | instskip(NEXT) | instid1(SALU_CYCLE_2)
	v_max_i32_e32 v1, v0, v1
	s_cvt_u32_f32 s6, s6
	s_delay_alu instid0(SALU_CYCLE_3) | instskip(NEXT) | instid1(SALU_CYCLE_1)
	s_mul_i32 s7, s7, s6
	s_mul_hi_u32 s7, s6, s7
	s_delay_alu instid0(SALU_CYCLE_1) | instskip(NEXT) | instid1(SALU_CYCLE_1)
	s_add_co_i32 s6, s6, s7
	v_mul_hi_u32 v2, v1, s6
	s_delay_alu instid0(VALU_DEP_1) | instskip(NEXT) | instid1(VALU_DEP_1)
	v_mul_lo_u32 v3, v2, s3
	v_dual_sub_nc_u32 v1, v1, v3 :: v_dual_add_nc_u32 v3, 1, v2
	s_delay_alu instid0(VALU_DEP_1) | instskip(NEXT) | instid1(VALU_DEP_2)
	v_cmp_le_u32_e32 vcc_lo, s3, v1
	v_dual_cndmask_b32 v2, v2, v3, vcc_lo :: v_dual_bitop2_b32 v3, s2, v0 bitop3:0x14
	v_subrev_nc_u32_e32 v4, s3, v1
	s_delay_alu instid0(VALU_DEP_1) | instskip(NEXT) | instid1(VALU_DEP_1)
	v_dual_cndmask_b32 v1, v1, v4 :: v_dual_add_nc_u32 v4, 1, v2
	v_cmp_le_u32_e32 vcc_lo, s3, v1
	s_delay_alu instid0(VALU_DEP_2) | instskip(NEXT) | instid1(VALU_DEP_1)
	v_dual_ashrrev_i32 v3, 31, v3 :: v_dual_cndmask_b32 v1, v2, v4, vcc_lo
	v_xor_b32_e32 v1, v1, v3
	s_delay_alu instid0(VALU_DEP_1) | instskip(NEXT) | instid1(VALU_DEP_1)
	v_sub_nc_u32_e32 v2, v1, v3
	v_mul_lo_u32 v1, v2, s2
	s_delay_alu instid0(VALU_DEP_1) | instskip(NEXT) | instid1(VALU_DEP_1)
	v_dual_sub_nc_u32 v0, v0, v1 :: v_dual_ashrrev_i32 v3, 31, v2
	v_ashrrev_i32_e32 v1, 31, v0
	s_delay_alu instid0(VALU_DEP_2) | instskip(NEXT) | instid1(VALU_DEP_1)
	v_mul_u64_e32 v[4:5], s[8:9], v[2:3]
	v_lshl_add_u64 v[2:3], v[4:5], 1, s[4:5]
	s_delay_alu instid0(VALU_DEP_1)
	v_lshl_add_u64 v[0:1], v[0:1], 1, v[2:3]
	v_mov_b32_e32 v2, s10
	global_store_b16 v[0:1], v2, off
.LBB37_2:
	s_endpgm
	.section	.rodata,"a",@progbits
	.p2align	6, 0x0
	.amdhsa_kernel _ZN9rocsparseL16valset_2d_kernelILj256Ei18rocsparse_bfloat16EEvT0_S2_lT1_PS3_16rocsparse_order_
		.amdhsa_group_segment_fixed_size 0
		.amdhsa_private_segment_fixed_size 0
		.amdhsa_kernarg_size 36
		.amdhsa_user_sgpr_count 2
		.amdhsa_user_sgpr_dispatch_ptr 0
		.amdhsa_user_sgpr_queue_ptr 0
		.amdhsa_user_sgpr_kernarg_segment_ptr 1
		.amdhsa_user_sgpr_dispatch_id 0
		.amdhsa_user_sgpr_kernarg_preload_length 0
		.amdhsa_user_sgpr_kernarg_preload_offset 0
		.amdhsa_user_sgpr_private_segment_size 0
		.amdhsa_wavefront_size32 1
		.amdhsa_uses_dynamic_stack 0
		.amdhsa_enable_private_segment 0
		.amdhsa_system_sgpr_workgroup_id_x 1
		.amdhsa_system_sgpr_workgroup_id_y 0
		.amdhsa_system_sgpr_workgroup_id_z 0
		.amdhsa_system_sgpr_workgroup_info 0
		.amdhsa_system_vgpr_workitem_id 0
		.amdhsa_next_free_vgpr 6
		.amdhsa_next_free_sgpr 11
		.amdhsa_named_barrier_count 0
		.amdhsa_reserve_vcc 1
		.amdhsa_float_round_mode_32 0
		.amdhsa_float_round_mode_16_64 0
		.amdhsa_float_denorm_mode_32 3
		.amdhsa_float_denorm_mode_16_64 3
		.amdhsa_fp16_overflow 0
		.amdhsa_memory_ordered 1
		.amdhsa_forward_progress 1
		.amdhsa_inst_pref_size 3
		.amdhsa_round_robin_scheduling 0
		.amdhsa_exception_fp_ieee_invalid_op 0
		.amdhsa_exception_fp_denorm_src 0
		.amdhsa_exception_fp_ieee_div_zero 0
		.amdhsa_exception_fp_ieee_overflow 0
		.amdhsa_exception_fp_ieee_underflow 0
		.amdhsa_exception_fp_ieee_inexact 0
		.amdhsa_exception_int_div_zero 0
	.end_amdhsa_kernel
	.section	.text._ZN9rocsparseL16valset_2d_kernelILj256Ei18rocsparse_bfloat16EEvT0_S2_lT1_PS3_16rocsparse_order_,"axG",@progbits,_ZN9rocsparseL16valset_2d_kernelILj256Ei18rocsparse_bfloat16EEvT0_S2_lT1_PS3_16rocsparse_order_,comdat
.Lfunc_end37:
	.size	_ZN9rocsparseL16valset_2d_kernelILj256Ei18rocsparse_bfloat16EEvT0_S2_lT1_PS3_16rocsparse_order_, .Lfunc_end37-_ZN9rocsparseL16valset_2d_kernelILj256Ei18rocsparse_bfloat16EEvT0_S2_lT1_PS3_16rocsparse_order_
                                        ; -- End function
	.set _ZN9rocsparseL16valset_2d_kernelILj256Ei18rocsparse_bfloat16EEvT0_S2_lT1_PS3_16rocsparse_order_.num_vgpr, 6
	.set _ZN9rocsparseL16valset_2d_kernelILj256Ei18rocsparse_bfloat16EEvT0_S2_lT1_PS3_16rocsparse_order_.num_agpr, 0
	.set _ZN9rocsparseL16valset_2d_kernelILj256Ei18rocsparse_bfloat16EEvT0_S2_lT1_PS3_16rocsparse_order_.numbered_sgpr, 11
	.set _ZN9rocsparseL16valset_2d_kernelILj256Ei18rocsparse_bfloat16EEvT0_S2_lT1_PS3_16rocsparse_order_.num_named_barrier, 0
	.set _ZN9rocsparseL16valset_2d_kernelILj256Ei18rocsparse_bfloat16EEvT0_S2_lT1_PS3_16rocsparse_order_.private_seg_size, 0
	.set _ZN9rocsparseL16valset_2d_kernelILj256Ei18rocsparse_bfloat16EEvT0_S2_lT1_PS3_16rocsparse_order_.uses_vcc, 1
	.set _ZN9rocsparseL16valset_2d_kernelILj256Ei18rocsparse_bfloat16EEvT0_S2_lT1_PS3_16rocsparse_order_.uses_flat_scratch, 0
	.set _ZN9rocsparseL16valset_2d_kernelILj256Ei18rocsparse_bfloat16EEvT0_S2_lT1_PS3_16rocsparse_order_.has_dyn_sized_stack, 0
	.set _ZN9rocsparseL16valset_2d_kernelILj256Ei18rocsparse_bfloat16EEvT0_S2_lT1_PS3_16rocsparse_order_.has_recursion, 0
	.set _ZN9rocsparseL16valset_2d_kernelILj256Ei18rocsparse_bfloat16EEvT0_S2_lT1_PS3_16rocsparse_order_.has_indirect_call, 0
	.section	.AMDGPU.csdata,"",@progbits
; Kernel info:
; codeLenInByte = 364
; TotalNumSgprs: 13
; NumVgprs: 6
; ScratchSize: 0
; MemoryBound: 0
; FloatMode: 240
; IeeeMode: 1
; LDSByteSize: 0 bytes/workgroup (compile time only)
; SGPRBlocks: 0
; VGPRBlocks: 0
; NumSGPRsForWavesPerEU: 13
; NumVGPRsForWavesPerEU: 6
; NamedBarCnt: 0
; Occupancy: 16
; WaveLimiterHint : 0
; COMPUTE_PGM_RSRC2:SCRATCH_EN: 0
; COMPUTE_PGM_RSRC2:USER_SGPR: 2
; COMPUTE_PGM_RSRC2:TRAP_HANDLER: 0
; COMPUTE_PGM_RSRC2:TGID_X_EN: 1
; COMPUTE_PGM_RSRC2:TGID_Y_EN: 0
; COMPUTE_PGM_RSRC2:TGID_Z_EN: 0
; COMPUTE_PGM_RSRC2:TIDIG_COMP_CNT: 0
	.section	.text._ZN9rocsparseL16valset_2d_kernelILj256EifEEvT0_S1_lT1_PS2_16rocsparse_order_,"axG",@progbits,_ZN9rocsparseL16valset_2d_kernelILj256EifEEvT0_S1_lT1_PS2_16rocsparse_order_,comdat
	.globl	_ZN9rocsparseL16valset_2d_kernelILj256EifEEvT0_S1_lT1_PS2_16rocsparse_order_ ; -- Begin function _ZN9rocsparseL16valset_2d_kernelILj256EifEEvT0_S1_lT1_PS2_16rocsparse_order_
	.p2align	8
	.type	_ZN9rocsparseL16valset_2d_kernelILj256EifEEvT0_S1_lT1_PS2_16rocsparse_order_,@function
_ZN9rocsparseL16valset_2d_kernelILj256EifEEvT0_S1_lT1_PS2_16rocsparse_order_: ; @_ZN9rocsparseL16valset_2d_kernelILj256EifEEvT0_S1_lT1_PS2_16rocsparse_order_
; %bb.0:
	s_load_b64 s[2:3], s[0:1], 0x0
	s_bfe_u32 s4, ttmp6, 0x4000c
	s_and_b32 s5, ttmp6, 15
	s_add_co_i32 s4, s4, 1
	s_getreg_b32 s6, hwreg(HW_REG_IB_STS2, 6, 4)
	s_mul_i32 s4, ttmp9, s4
	s_delay_alu instid0(SALU_CYCLE_1) | instskip(SKIP_2) | instid1(SALU_CYCLE_1)
	s_add_co_i32 s5, s5, s4
	s_cmp_eq_u32 s6, 0
	s_cselect_b32 s4, ttmp9, s5
	v_lshl_or_b32 v0, s4, 8, v0
	s_wait_kmcnt 0x0
	s_mul_i32 s4, s3, s2
	s_delay_alu instid0(VALU_DEP_1) | instid1(SALU_CYCLE_1)
	v_cmp_gt_i32_e32 vcc_lo, s4, v0
	s_and_saveexec_b32 s4, vcc_lo
	s_cbranch_execz .LBB38_2
; %bb.1:
	s_clause 0x1
	s_load_b96 s[4:6], s[0:1], 0x18
	s_load_b96 s[8:10], s[0:1], 0x8
	s_wait_kmcnt 0x0
	s_cmp_eq_u32 s6, 1
	s_cselect_b32 s2, s2, s3
	s_delay_alu instid0(SALU_CYCLE_1) | instskip(NEXT) | instid1(SALU_CYCLE_1)
	s_abs_i32 s3, s2
	s_cvt_f32_u32 s6, s3
	s_sub_co_i32 s7, 0, s3
	s_delay_alu instid0(SALU_CYCLE_2) | instskip(SKIP_1) | instid1(TRANS32_DEP_1)
	v_rcp_iflag_f32_e32 v1, s6
	v_nop
	v_readfirstlane_b32 s6, v1
	v_sub_nc_u32_e32 v1, 0, v0
	s_mul_f32 s6, s6, 0x4f7ffffe
	s_delay_alu instid0(VALU_DEP_1) | instskip(NEXT) | instid1(SALU_CYCLE_2)
	v_max_i32_e32 v1, v0, v1
	s_cvt_u32_f32 s6, s6
	s_delay_alu instid0(SALU_CYCLE_3) | instskip(NEXT) | instid1(SALU_CYCLE_1)
	s_mul_i32 s7, s7, s6
	s_mul_hi_u32 s7, s6, s7
	s_delay_alu instid0(SALU_CYCLE_1) | instskip(NEXT) | instid1(SALU_CYCLE_1)
	s_add_co_i32 s6, s6, s7
	v_mul_hi_u32 v2, v1, s6
	s_delay_alu instid0(VALU_DEP_1) | instskip(NEXT) | instid1(VALU_DEP_1)
	v_mul_lo_u32 v3, v2, s3
	v_dual_sub_nc_u32 v1, v1, v3 :: v_dual_add_nc_u32 v3, 1, v2
	s_delay_alu instid0(VALU_DEP_1) | instskip(NEXT) | instid1(VALU_DEP_2)
	v_cmp_le_u32_e32 vcc_lo, s3, v1
	v_dual_cndmask_b32 v2, v2, v3, vcc_lo :: v_dual_bitop2_b32 v3, s2, v0 bitop3:0x14
	v_subrev_nc_u32_e32 v4, s3, v1
	s_delay_alu instid0(VALU_DEP_1) | instskip(NEXT) | instid1(VALU_DEP_1)
	v_dual_cndmask_b32 v1, v1, v4 :: v_dual_add_nc_u32 v4, 1, v2
	v_cmp_le_u32_e32 vcc_lo, s3, v1
	s_delay_alu instid0(VALU_DEP_2) | instskip(NEXT) | instid1(VALU_DEP_1)
	v_dual_ashrrev_i32 v3, 31, v3 :: v_dual_cndmask_b32 v1, v2, v4, vcc_lo
	v_xor_b32_e32 v1, v1, v3
	s_delay_alu instid0(VALU_DEP_1) | instskip(NEXT) | instid1(VALU_DEP_1)
	v_sub_nc_u32_e32 v2, v1, v3
	v_mul_lo_u32 v1, v2, s2
	s_delay_alu instid0(VALU_DEP_1) | instskip(NEXT) | instid1(VALU_DEP_1)
	v_dual_sub_nc_u32 v0, v0, v1 :: v_dual_ashrrev_i32 v3, 31, v2
	v_ashrrev_i32_e32 v1, 31, v0
	s_delay_alu instid0(VALU_DEP_2) | instskip(NEXT) | instid1(VALU_DEP_1)
	v_mul_u64_e32 v[4:5], s[8:9], v[2:3]
	v_lshl_add_u64 v[2:3], v[4:5], 2, s[4:5]
	s_delay_alu instid0(VALU_DEP_1)
	v_lshl_add_u64 v[0:1], v[0:1], 2, v[2:3]
	v_mov_b32_e32 v2, s10
	global_store_b32 v[0:1], v2, off
.LBB38_2:
	s_endpgm
	.section	.rodata,"a",@progbits
	.p2align	6, 0x0
	.amdhsa_kernel _ZN9rocsparseL16valset_2d_kernelILj256EifEEvT0_S1_lT1_PS2_16rocsparse_order_
		.amdhsa_group_segment_fixed_size 0
		.amdhsa_private_segment_fixed_size 0
		.amdhsa_kernarg_size 36
		.amdhsa_user_sgpr_count 2
		.amdhsa_user_sgpr_dispatch_ptr 0
		.amdhsa_user_sgpr_queue_ptr 0
		.amdhsa_user_sgpr_kernarg_segment_ptr 1
		.amdhsa_user_sgpr_dispatch_id 0
		.amdhsa_user_sgpr_kernarg_preload_length 0
		.amdhsa_user_sgpr_kernarg_preload_offset 0
		.amdhsa_user_sgpr_private_segment_size 0
		.amdhsa_wavefront_size32 1
		.amdhsa_uses_dynamic_stack 0
		.amdhsa_enable_private_segment 0
		.amdhsa_system_sgpr_workgroup_id_x 1
		.amdhsa_system_sgpr_workgroup_id_y 0
		.amdhsa_system_sgpr_workgroup_id_z 0
		.amdhsa_system_sgpr_workgroup_info 0
		.amdhsa_system_vgpr_workitem_id 0
		.amdhsa_next_free_vgpr 6
		.amdhsa_next_free_sgpr 11
		.amdhsa_named_barrier_count 0
		.amdhsa_reserve_vcc 1
		.amdhsa_float_round_mode_32 0
		.amdhsa_float_round_mode_16_64 0
		.amdhsa_float_denorm_mode_32 3
		.amdhsa_float_denorm_mode_16_64 3
		.amdhsa_fp16_overflow 0
		.amdhsa_memory_ordered 1
		.amdhsa_forward_progress 1
		.amdhsa_inst_pref_size 3
		.amdhsa_round_robin_scheduling 0
		.amdhsa_exception_fp_ieee_invalid_op 0
		.amdhsa_exception_fp_denorm_src 0
		.amdhsa_exception_fp_ieee_div_zero 0
		.amdhsa_exception_fp_ieee_overflow 0
		.amdhsa_exception_fp_ieee_underflow 0
		.amdhsa_exception_fp_ieee_inexact 0
		.amdhsa_exception_int_div_zero 0
	.end_amdhsa_kernel
	.section	.text._ZN9rocsparseL16valset_2d_kernelILj256EifEEvT0_S1_lT1_PS2_16rocsparse_order_,"axG",@progbits,_ZN9rocsparseL16valset_2d_kernelILj256EifEEvT0_S1_lT1_PS2_16rocsparse_order_,comdat
.Lfunc_end38:
	.size	_ZN9rocsparseL16valset_2d_kernelILj256EifEEvT0_S1_lT1_PS2_16rocsparse_order_, .Lfunc_end38-_ZN9rocsparseL16valset_2d_kernelILj256EifEEvT0_S1_lT1_PS2_16rocsparse_order_
                                        ; -- End function
	.set _ZN9rocsparseL16valset_2d_kernelILj256EifEEvT0_S1_lT1_PS2_16rocsparse_order_.num_vgpr, 6
	.set _ZN9rocsparseL16valset_2d_kernelILj256EifEEvT0_S1_lT1_PS2_16rocsparse_order_.num_agpr, 0
	.set _ZN9rocsparseL16valset_2d_kernelILj256EifEEvT0_S1_lT1_PS2_16rocsparse_order_.numbered_sgpr, 11
	.set _ZN9rocsparseL16valset_2d_kernelILj256EifEEvT0_S1_lT1_PS2_16rocsparse_order_.num_named_barrier, 0
	.set _ZN9rocsparseL16valset_2d_kernelILj256EifEEvT0_S1_lT1_PS2_16rocsparse_order_.private_seg_size, 0
	.set _ZN9rocsparseL16valset_2d_kernelILj256EifEEvT0_S1_lT1_PS2_16rocsparse_order_.uses_vcc, 1
	.set _ZN9rocsparseL16valset_2d_kernelILj256EifEEvT0_S1_lT1_PS2_16rocsparse_order_.uses_flat_scratch, 0
	.set _ZN9rocsparseL16valset_2d_kernelILj256EifEEvT0_S1_lT1_PS2_16rocsparse_order_.has_dyn_sized_stack, 0
	.set _ZN9rocsparseL16valset_2d_kernelILj256EifEEvT0_S1_lT1_PS2_16rocsparse_order_.has_recursion, 0
	.set _ZN9rocsparseL16valset_2d_kernelILj256EifEEvT0_S1_lT1_PS2_16rocsparse_order_.has_indirect_call, 0
	.section	.AMDGPU.csdata,"",@progbits
; Kernel info:
; codeLenInByte = 364
; TotalNumSgprs: 13
; NumVgprs: 6
; ScratchSize: 0
; MemoryBound: 0
; FloatMode: 240
; IeeeMode: 1
; LDSByteSize: 0 bytes/workgroup (compile time only)
; SGPRBlocks: 0
; VGPRBlocks: 0
; NumSGPRsForWavesPerEU: 13
; NumVGPRsForWavesPerEU: 6
; NamedBarCnt: 0
; Occupancy: 16
; WaveLimiterHint : 0
; COMPUTE_PGM_RSRC2:SCRATCH_EN: 0
; COMPUTE_PGM_RSRC2:USER_SGPR: 2
; COMPUTE_PGM_RSRC2:TRAP_HANDLER: 0
; COMPUTE_PGM_RSRC2:TGID_X_EN: 1
; COMPUTE_PGM_RSRC2:TGID_Y_EN: 0
; COMPUTE_PGM_RSRC2:TGID_Z_EN: 0
; COMPUTE_PGM_RSRC2:TIDIG_COMP_CNT: 0
	.section	.text._ZN9rocsparseL16valset_2d_kernelILj256EidEEvT0_S1_lT1_PS2_16rocsparse_order_,"axG",@progbits,_ZN9rocsparseL16valset_2d_kernelILj256EidEEvT0_S1_lT1_PS2_16rocsparse_order_,comdat
	.globl	_ZN9rocsparseL16valset_2d_kernelILj256EidEEvT0_S1_lT1_PS2_16rocsparse_order_ ; -- Begin function _ZN9rocsparseL16valset_2d_kernelILj256EidEEvT0_S1_lT1_PS2_16rocsparse_order_
	.p2align	8
	.type	_ZN9rocsparseL16valset_2d_kernelILj256EidEEvT0_S1_lT1_PS2_16rocsparse_order_,@function
_ZN9rocsparseL16valset_2d_kernelILj256EidEEvT0_S1_lT1_PS2_16rocsparse_order_: ; @_ZN9rocsparseL16valset_2d_kernelILj256EidEEvT0_S1_lT1_PS2_16rocsparse_order_
; %bb.0:
	s_load_b64 s[2:3], s[0:1], 0x0
	s_bfe_u32 s4, ttmp6, 0x4000c
	s_and_b32 s5, ttmp6, 15
	s_add_co_i32 s4, s4, 1
	s_getreg_b32 s6, hwreg(HW_REG_IB_STS2, 6, 4)
	s_mul_i32 s4, ttmp9, s4
	s_delay_alu instid0(SALU_CYCLE_1) | instskip(SKIP_2) | instid1(SALU_CYCLE_1)
	s_add_co_i32 s5, s5, s4
	s_cmp_eq_u32 s6, 0
	s_cselect_b32 s4, ttmp9, s5
	v_lshl_or_b32 v0, s4, 8, v0
	s_wait_kmcnt 0x0
	s_mul_i32 s4, s3, s2
	s_delay_alu instid0(VALU_DEP_1) | instid1(SALU_CYCLE_1)
	v_cmp_gt_i32_e32 vcc_lo, s4, v0
	s_and_saveexec_b32 s4, vcc_lo
	s_cbranch_execz .LBB39_2
; %bb.1:
	s_clause 0x1
	s_load_b96 s[4:6], s[0:1], 0x18
	s_load_b128 s[8:11], s[0:1], 0x8
	s_wait_kmcnt 0x0
	s_cmp_eq_u32 s6, 1
	s_cselect_b32 s2, s2, s3
	s_delay_alu instid0(SALU_CYCLE_1) | instskip(NEXT) | instid1(SALU_CYCLE_1)
	s_abs_i32 s3, s2
	s_cvt_f32_u32 s6, s3
	s_sub_co_i32 s7, 0, s3
	s_delay_alu instid0(SALU_CYCLE_2) | instskip(SKIP_1) | instid1(TRANS32_DEP_1)
	v_rcp_iflag_f32_e32 v1, s6
	v_nop
	v_readfirstlane_b32 s6, v1
	v_sub_nc_u32_e32 v1, 0, v0
	s_mul_f32 s6, s6, 0x4f7ffffe
	s_delay_alu instid0(VALU_DEP_1) | instskip(NEXT) | instid1(SALU_CYCLE_2)
	v_max_i32_e32 v1, v0, v1
	s_cvt_u32_f32 s6, s6
	s_delay_alu instid0(SALU_CYCLE_3) | instskip(NEXT) | instid1(SALU_CYCLE_1)
	s_mul_i32 s7, s7, s6
	s_mul_hi_u32 s7, s6, s7
	s_delay_alu instid0(SALU_CYCLE_1) | instskip(NEXT) | instid1(SALU_CYCLE_1)
	s_add_co_i32 s6, s6, s7
	v_mul_hi_u32 v2, v1, s6
	s_delay_alu instid0(VALU_DEP_1) | instskip(NEXT) | instid1(VALU_DEP_1)
	v_mul_lo_u32 v3, v2, s3
	v_dual_sub_nc_u32 v1, v1, v3 :: v_dual_add_nc_u32 v3, 1, v2
	s_delay_alu instid0(VALU_DEP_1) | instskip(NEXT) | instid1(VALU_DEP_2)
	v_cmp_le_u32_e32 vcc_lo, s3, v1
	v_dual_cndmask_b32 v2, v2, v3, vcc_lo :: v_dual_bitop2_b32 v3, s2, v0 bitop3:0x14
	v_subrev_nc_u32_e32 v4, s3, v1
	s_delay_alu instid0(VALU_DEP_1) | instskip(NEXT) | instid1(VALU_DEP_1)
	v_dual_cndmask_b32 v1, v1, v4 :: v_dual_add_nc_u32 v4, 1, v2
	v_cmp_le_u32_e32 vcc_lo, s3, v1
	s_delay_alu instid0(VALU_DEP_2) | instskip(NEXT) | instid1(VALU_DEP_1)
	v_dual_ashrrev_i32 v3, 31, v3 :: v_dual_cndmask_b32 v1, v2, v4, vcc_lo
	v_xor_b32_e32 v1, v1, v3
	s_delay_alu instid0(VALU_DEP_1) | instskip(NEXT) | instid1(VALU_DEP_1)
	v_sub_nc_u32_e32 v2, v1, v3
	v_mul_lo_u32 v1, v2, s2
	s_delay_alu instid0(VALU_DEP_1) | instskip(NEXT) | instid1(VALU_DEP_1)
	v_dual_sub_nc_u32 v0, v0, v1 :: v_dual_ashrrev_i32 v3, 31, v2
	v_ashrrev_i32_e32 v1, 31, v0
	s_delay_alu instid0(VALU_DEP_2) | instskip(NEXT) | instid1(VALU_DEP_1)
	v_mul_u64_e32 v[4:5], s[8:9], v[2:3]
	v_lshl_add_u64 v[2:3], v[4:5], 3, s[4:5]
	v_dual_mov_b32 v4, s10 :: v_dual_mov_b32 v5, s11
	s_delay_alu instid0(VALU_DEP_2)
	v_lshl_add_u64 v[0:1], v[0:1], 3, v[2:3]
	global_store_b64 v[0:1], v[4:5], off
.LBB39_2:
	s_endpgm
	.section	.rodata,"a",@progbits
	.p2align	6, 0x0
	.amdhsa_kernel _ZN9rocsparseL16valset_2d_kernelILj256EidEEvT0_S1_lT1_PS2_16rocsparse_order_
		.amdhsa_group_segment_fixed_size 0
		.amdhsa_private_segment_fixed_size 0
		.amdhsa_kernarg_size 36
		.amdhsa_user_sgpr_count 2
		.amdhsa_user_sgpr_dispatch_ptr 0
		.amdhsa_user_sgpr_queue_ptr 0
		.amdhsa_user_sgpr_kernarg_segment_ptr 1
		.amdhsa_user_sgpr_dispatch_id 0
		.amdhsa_user_sgpr_kernarg_preload_length 0
		.amdhsa_user_sgpr_kernarg_preload_offset 0
		.amdhsa_user_sgpr_private_segment_size 0
		.amdhsa_wavefront_size32 1
		.amdhsa_uses_dynamic_stack 0
		.amdhsa_enable_private_segment 0
		.amdhsa_system_sgpr_workgroup_id_x 1
		.amdhsa_system_sgpr_workgroup_id_y 0
		.amdhsa_system_sgpr_workgroup_id_z 0
		.amdhsa_system_sgpr_workgroup_info 0
		.amdhsa_system_vgpr_workitem_id 0
		.amdhsa_next_free_vgpr 6
		.amdhsa_next_free_sgpr 12
		.amdhsa_named_barrier_count 0
		.amdhsa_reserve_vcc 1
		.amdhsa_float_round_mode_32 0
		.amdhsa_float_round_mode_16_64 0
		.amdhsa_float_denorm_mode_32 3
		.amdhsa_float_denorm_mode_16_64 3
		.amdhsa_fp16_overflow 0
		.amdhsa_memory_ordered 1
		.amdhsa_forward_progress 1
		.amdhsa_inst_pref_size 3
		.amdhsa_round_robin_scheduling 0
		.amdhsa_exception_fp_ieee_invalid_op 0
		.amdhsa_exception_fp_denorm_src 0
		.amdhsa_exception_fp_ieee_div_zero 0
		.amdhsa_exception_fp_ieee_overflow 0
		.amdhsa_exception_fp_ieee_underflow 0
		.amdhsa_exception_fp_ieee_inexact 0
		.amdhsa_exception_int_div_zero 0
	.end_amdhsa_kernel
	.section	.text._ZN9rocsparseL16valset_2d_kernelILj256EidEEvT0_S1_lT1_PS2_16rocsparse_order_,"axG",@progbits,_ZN9rocsparseL16valset_2d_kernelILj256EidEEvT0_S1_lT1_PS2_16rocsparse_order_,comdat
.Lfunc_end39:
	.size	_ZN9rocsparseL16valset_2d_kernelILj256EidEEvT0_S1_lT1_PS2_16rocsparse_order_, .Lfunc_end39-_ZN9rocsparseL16valset_2d_kernelILj256EidEEvT0_S1_lT1_PS2_16rocsparse_order_
                                        ; -- End function
	.set _ZN9rocsparseL16valset_2d_kernelILj256EidEEvT0_S1_lT1_PS2_16rocsparse_order_.num_vgpr, 6
	.set _ZN9rocsparseL16valset_2d_kernelILj256EidEEvT0_S1_lT1_PS2_16rocsparse_order_.num_agpr, 0
	.set _ZN9rocsparseL16valset_2d_kernelILj256EidEEvT0_S1_lT1_PS2_16rocsparse_order_.numbered_sgpr, 12
	.set _ZN9rocsparseL16valset_2d_kernelILj256EidEEvT0_S1_lT1_PS2_16rocsparse_order_.num_named_barrier, 0
	.set _ZN9rocsparseL16valset_2d_kernelILj256EidEEvT0_S1_lT1_PS2_16rocsparse_order_.private_seg_size, 0
	.set _ZN9rocsparseL16valset_2d_kernelILj256EidEEvT0_S1_lT1_PS2_16rocsparse_order_.uses_vcc, 1
	.set _ZN9rocsparseL16valset_2d_kernelILj256EidEEvT0_S1_lT1_PS2_16rocsparse_order_.uses_flat_scratch, 0
	.set _ZN9rocsparseL16valset_2d_kernelILj256EidEEvT0_S1_lT1_PS2_16rocsparse_order_.has_dyn_sized_stack, 0
	.set _ZN9rocsparseL16valset_2d_kernelILj256EidEEvT0_S1_lT1_PS2_16rocsparse_order_.has_recursion, 0
	.set _ZN9rocsparseL16valset_2d_kernelILj256EidEEvT0_S1_lT1_PS2_16rocsparse_order_.has_indirect_call, 0
	.section	.AMDGPU.csdata,"",@progbits
; Kernel info:
; codeLenInByte = 368
; TotalNumSgprs: 14
; NumVgprs: 6
; ScratchSize: 0
; MemoryBound: 0
; FloatMode: 240
; IeeeMode: 1
; LDSByteSize: 0 bytes/workgroup (compile time only)
; SGPRBlocks: 0
; VGPRBlocks: 0
; NumSGPRsForWavesPerEU: 14
; NumVGPRsForWavesPerEU: 6
; NamedBarCnt: 0
; Occupancy: 16
; WaveLimiterHint : 0
; COMPUTE_PGM_RSRC2:SCRATCH_EN: 0
; COMPUTE_PGM_RSRC2:USER_SGPR: 2
; COMPUTE_PGM_RSRC2:TRAP_HANDLER: 0
; COMPUTE_PGM_RSRC2:TGID_X_EN: 1
; COMPUTE_PGM_RSRC2:TGID_Y_EN: 0
; COMPUTE_PGM_RSRC2:TGID_Z_EN: 0
; COMPUTE_PGM_RSRC2:TIDIG_COMP_CNT: 0
	.section	.text._ZN9rocsparseL16valset_2d_kernelILj256Ei21rocsparse_complex_numIfEEEvT0_S3_lT1_PS4_16rocsparse_order_,"axG",@progbits,_ZN9rocsparseL16valset_2d_kernelILj256Ei21rocsparse_complex_numIfEEEvT0_S3_lT1_PS4_16rocsparse_order_,comdat
	.globl	_ZN9rocsparseL16valset_2d_kernelILj256Ei21rocsparse_complex_numIfEEEvT0_S3_lT1_PS4_16rocsparse_order_ ; -- Begin function _ZN9rocsparseL16valset_2d_kernelILj256Ei21rocsparse_complex_numIfEEEvT0_S3_lT1_PS4_16rocsparse_order_
	.p2align	8
	.type	_ZN9rocsparseL16valset_2d_kernelILj256Ei21rocsparse_complex_numIfEEEvT0_S3_lT1_PS4_16rocsparse_order_,@function
_ZN9rocsparseL16valset_2d_kernelILj256Ei21rocsparse_complex_numIfEEEvT0_S3_lT1_PS4_16rocsparse_order_: ; @_ZN9rocsparseL16valset_2d_kernelILj256Ei21rocsparse_complex_numIfEEEvT0_S3_lT1_PS4_16rocsparse_order_
; %bb.0:
	s_load_b64 s[2:3], s[0:1], 0x0
	s_bfe_u32 s4, ttmp6, 0x4000c
	s_and_b32 s5, ttmp6, 15
	s_add_co_i32 s4, s4, 1
	s_getreg_b32 s6, hwreg(HW_REG_IB_STS2, 6, 4)
	s_mul_i32 s4, ttmp9, s4
	s_delay_alu instid0(SALU_CYCLE_1) | instskip(SKIP_2) | instid1(SALU_CYCLE_1)
	s_add_co_i32 s5, s5, s4
	s_cmp_eq_u32 s6, 0
	s_cselect_b32 s4, ttmp9, s5
	v_lshl_or_b32 v0, s4, 8, v0
	s_wait_kmcnt 0x0
	s_mul_i32 s4, s3, s2
	s_delay_alu instid0(VALU_DEP_1) | instid1(SALU_CYCLE_1)
	v_cmp_gt_i32_e32 vcc_lo, s4, v0
	s_and_saveexec_b32 s4, vcc_lo
	s_cbranch_execz .LBB40_2
; %bb.1:
	s_load_b96 s[8:10], s[0:1], 0x18
	s_wait_kmcnt 0x0
	s_cmp_eq_u32 s10, 1
	s_cselect_b32 s2, s2, s3
	s_delay_alu instid0(SALU_CYCLE_1) | instskip(NEXT) | instid1(SALU_CYCLE_1)
	s_abs_i32 s3, s2
	s_cvt_f32_u32 s4, s3
	s_sub_co_i32 s5, 0, s3
	s_delay_alu instid0(SALU_CYCLE_2) | instskip(SKIP_1) | instid1(TRANS32_DEP_1)
	v_rcp_iflag_f32_e32 v1, s4
	v_nop
	v_readfirstlane_b32 s4, v1
	v_sub_nc_u32_e32 v1, 0, v0
	s_mul_f32 s4, s4, 0x4f7ffffe
	s_delay_alu instid0(VALU_DEP_1) | instskip(NEXT) | instid1(SALU_CYCLE_2)
	v_max_i32_e32 v1, v0, v1
	s_cvt_u32_f32 s4, s4
	s_delay_alu instid0(SALU_CYCLE_3) | instskip(NEXT) | instid1(SALU_CYCLE_1)
	s_mul_i32 s5, s5, s4
	s_mul_hi_u32 s5, s4, s5
	s_delay_alu instid0(SALU_CYCLE_1) | instskip(NEXT) | instid1(SALU_CYCLE_1)
	s_add_co_i32 s4, s4, s5
	v_mul_hi_u32 v2, v1, s4
	s_load_b128 s[4:7], s[0:1], 0x8
	s_delay_alu instid0(VALU_DEP_1) | instskip(NEXT) | instid1(VALU_DEP_1)
	v_mul_lo_u32 v3, v2, s3
	v_dual_sub_nc_u32 v1, v1, v3 :: v_dual_add_nc_u32 v3, 1, v2
	s_delay_alu instid0(VALU_DEP_1) | instskip(NEXT) | instid1(VALU_DEP_2)
	v_cmp_le_u32_e32 vcc_lo, s3, v1
	v_dual_cndmask_b32 v2, v2, v3, vcc_lo :: v_dual_bitop2_b32 v3, s2, v0 bitop3:0x14
	v_subrev_nc_u32_e32 v4, s3, v1
	s_delay_alu instid0(VALU_DEP_1) | instskip(NEXT) | instid1(VALU_DEP_1)
	v_dual_cndmask_b32 v1, v1, v4 :: v_dual_add_nc_u32 v4, 1, v2
	v_cmp_le_u32_e32 vcc_lo, s3, v1
	s_delay_alu instid0(VALU_DEP_2) | instskip(NEXT) | instid1(VALU_DEP_1)
	v_dual_ashrrev_i32 v3, 31, v3 :: v_dual_cndmask_b32 v1, v2, v4, vcc_lo
	v_xor_b32_e32 v1, v1, v3
	s_delay_alu instid0(VALU_DEP_1) | instskip(NEXT) | instid1(VALU_DEP_1)
	v_sub_nc_u32_e32 v2, v1, v3
	v_mul_lo_u32 v1, v2, s2
	s_delay_alu instid0(VALU_DEP_1) | instskip(NEXT) | instid1(VALU_DEP_1)
	v_dual_sub_nc_u32 v0, v0, v1 :: v_dual_ashrrev_i32 v3, 31, v2
	v_ashrrev_i32_e32 v1, 31, v0
	s_wait_kmcnt 0x0
	s_delay_alu instid0(VALU_DEP_2) | instskip(NEXT) | instid1(VALU_DEP_1)
	v_mul_u64_e32 v[4:5], s[4:5], v[2:3]
	v_lshl_add_u64 v[2:3], v[4:5], 3, s[8:9]
	s_delay_alu instid0(VALU_DEP_1)
	v_lshl_add_u64 v[0:1], v[0:1], 3, v[2:3]
	v_mov_b64_e32 v[2:3], s[6:7]
	global_store_b64 v[0:1], v[2:3], off
.LBB40_2:
	s_endpgm
	.section	.rodata,"a",@progbits
	.p2align	6, 0x0
	.amdhsa_kernel _ZN9rocsparseL16valset_2d_kernelILj256Ei21rocsparse_complex_numIfEEEvT0_S3_lT1_PS4_16rocsparse_order_
		.amdhsa_group_segment_fixed_size 0
		.amdhsa_private_segment_fixed_size 0
		.amdhsa_kernarg_size 36
		.amdhsa_user_sgpr_count 2
		.amdhsa_user_sgpr_dispatch_ptr 0
		.amdhsa_user_sgpr_queue_ptr 0
		.amdhsa_user_sgpr_kernarg_segment_ptr 1
		.amdhsa_user_sgpr_dispatch_id 0
		.amdhsa_user_sgpr_kernarg_preload_length 0
		.amdhsa_user_sgpr_kernarg_preload_offset 0
		.amdhsa_user_sgpr_private_segment_size 0
		.amdhsa_wavefront_size32 1
		.amdhsa_uses_dynamic_stack 0
		.amdhsa_enable_private_segment 0
		.amdhsa_system_sgpr_workgroup_id_x 1
		.amdhsa_system_sgpr_workgroup_id_y 0
		.amdhsa_system_sgpr_workgroup_id_z 0
		.amdhsa_system_sgpr_workgroup_info 0
		.amdhsa_system_vgpr_workitem_id 0
		.amdhsa_next_free_vgpr 6
		.amdhsa_next_free_sgpr 11
		.amdhsa_named_barrier_count 0
		.amdhsa_reserve_vcc 1
		.amdhsa_float_round_mode_32 0
		.amdhsa_float_round_mode_16_64 0
		.amdhsa_float_denorm_mode_32 3
		.amdhsa_float_denorm_mode_16_64 3
		.amdhsa_fp16_overflow 0
		.amdhsa_memory_ordered 1
		.amdhsa_forward_progress 1
		.amdhsa_inst_pref_size 3
		.amdhsa_round_robin_scheduling 0
		.amdhsa_exception_fp_ieee_invalid_op 0
		.amdhsa_exception_fp_denorm_src 0
		.amdhsa_exception_fp_ieee_div_zero 0
		.amdhsa_exception_fp_ieee_overflow 0
		.amdhsa_exception_fp_ieee_underflow 0
		.amdhsa_exception_fp_ieee_inexact 0
		.amdhsa_exception_int_div_zero 0
	.end_amdhsa_kernel
	.section	.text._ZN9rocsparseL16valset_2d_kernelILj256Ei21rocsparse_complex_numIfEEEvT0_S3_lT1_PS4_16rocsparse_order_,"axG",@progbits,_ZN9rocsparseL16valset_2d_kernelILj256Ei21rocsparse_complex_numIfEEEvT0_S3_lT1_PS4_16rocsparse_order_,comdat
.Lfunc_end40:
	.size	_ZN9rocsparseL16valset_2d_kernelILj256Ei21rocsparse_complex_numIfEEEvT0_S3_lT1_PS4_16rocsparse_order_, .Lfunc_end40-_ZN9rocsparseL16valset_2d_kernelILj256Ei21rocsparse_complex_numIfEEEvT0_S3_lT1_PS4_16rocsparse_order_
                                        ; -- End function
	.set _ZN9rocsparseL16valset_2d_kernelILj256Ei21rocsparse_complex_numIfEEEvT0_S3_lT1_PS4_16rocsparse_order_.num_vgpr, 6
	.set _ZN9rocsparseL16valset_2d_kernelILj256Ei21rocsparse_complex_numIfEEEvT0_S3_lT1_PS4_16rocsparse_order_.num_agpr, 0
	.set _ZN9rocsparseL16valset_2d_kernelILj256Ei21rocsparse_complex_numIfEEEvT0_S3_lT1_PS4_16rocsparse_order_.numbered_sgpr, 11
	.set _ZN9rocsparseL16valset_2d_kernelILj256Ei21rocsparse_complex_numIfEEEvT0_S3_lT1_PS4_16rocsparse_order_.num_named_barrier, 0
	.set _ZN9rocsparseL16valset_2d_kernelILj256Ei21rocsparse_complex_numIfEEEvT0_S3_lT1_PS4_16rocsparse_order_.private_seg_size, 0
	.set _ZN9rocsparseL16valset_2d_kernelILj256Ei21rocsparse_complex_numIfEEEvT0_S3_lT1_PS4_16rocsparse_order_.uses_vcc, 1
	.set _ZN9rocsparseL16valset_2d_kernelILj256Ei21rocsparse_complex_numIfEEEvT0_S3_lT1_PS4_16rocsparse_order_.uses_flat_scratch, 0
	.set _ZN9rocsparseL16valset_2d_kernelILj256Ei21rocsparse_complex_numIfEEEvT0_S3_lT1_PS4_16rocsparse_order_.has_dyn_sized_stack, 0
	.set _ZN9rocsparseL16valset_2d_kernelILj256Ei21rocsparse_complex_numIfEEEvT0_S3_lT1_PS4_16rocsparse_order_.has_recursion, 0
	.set _ZN9rocsparseL16valset_2d_kernelILj256Ei21rocsparse_complex_numIfEEEvT0_S3_lT1_PS4_16rocsparse_order_.has_indirect_call, 0
	.section	.AMDGPU.csdata,"",@progbits
; Kernel info:
; codeLenInByte = 364
; TotalNumSgprs: 13
; NumVgprs: 6
; ScratchSize: 0
; MemoryBound: 0
; FloatMode: 240
; IeeeMode: 1
; LDSByteSize: 0 bytes/workgroup (compile time only)
; SGPRBlocks: 0
; VGPRBlocks: 0
; NumSGPRsForWavesPerEU: 13
; NumVGPRsForWavesPerEU: 6
; NamedBarCnt: 0
; Occupancy: 16
; WaveLimiterHint : 0
; COMPUTE_PGM_RSRC2:SCRATCH_EN: 0
; COMPUTE_PGM_RSRC2:USER_SGPR: 2
; COMPUTE_PGM_RSRC2:TRAP_HANDLER: 0
; COMPUTE_PGM_RSRC2:TGID_X_EN: 1
; COMPUTE_PGM_RSRC2:TGID_Y_EN: 0
; COMPUTE_PGM_RSRC2:TGID_Z_EN: 0
; COMPUTE_PGM_RSRC2:TIDIG_COMP_CNT: 0
	.section	.text._ZN9rocsparseL16valset_2d_kernelILj256Ei21rocsparse_complex_numIdEEEvT0_S3_lT1_PS4_16rocsparse_order_,"axG",@progbits,_ZN9rocsparseL16valset_2d_kernelILj256Ei21rocsparse_complex_numIdEEEvT0_S3_lT1_PS4_16rocsparse_order_,comdat
	.globl	_ZN9rocsparseL16valset_2d_kernelILj256Ei21rocsparse_complex_numIdEEEvT0_S3_lT1_PS4_16rocsparse_order_ ; -- Begin function _ZN9rocsparseL16valset_2d_kernelILj256Ei21rocsparse_complex_numIdEEEvT0_S3_lT1_PS4_16rocsparse_order_
	.p2align	8
	.type	_ZN9rocsparseL16valset_2d_kernelILj256Ei21rocsparse_complex_numIdEEEvT0_S3_lT1_PS4_16rocsparse_order_,@function
_ZN9rocsparseL16valset_2d_kernelILj256Ei21rocsparse_complex_numIdEEEvT0_S3_lT1_PS4_16rocsparse_order_: ; @_ZN9rocsparseL16valset_2d_kernelILj256Ei21rocsparse_complex_numIdEEEvT0_S3_lT1_PS4_16rocsparse_order_
; %bb.0:
	s_load_b64 s[2:3], s[0:1], 0x0
	s_bfe_u32 s4, ttmp6, 0x4000c
	s_and_b32 s5, ttmp6, 15
	s_add_co_i32 s4, s4, 1
	s_getreg_b32 s6, hwreg(HW_REG_IB_STS2, 6, 4)
	s_mul_i32 s4, ttmp9, s4
	s_delay_alu instid0(SALU_CYCLE_1) | instskip(SKIP_2) | instid1(SALU_CYCLE_1)
	s_add_co_i32 s5, s5, s4
	s_cmp_eq_u32 s6, 0
	s_cselect_b32 s4, ttmp9, s5
	v_lshl_or_b32 v0, s4, 8, v0
	s_wait_kmcnt 0x0
	s_mul_i32 s4, s3, s2
	s_delay_alu instid0(VALU_DEP_1) | instid1(SALU_CYCLE_1)
	v_cmp_gt_i32_e32 vcc_lo, s4, v0
	s_and_saveexec_b32 s4, vcc_lo
	s_cbranch_execz .LBB41_2
; %bb.1:
	s_clause 0x1
	s_load_b96 s[4:6], s[0:1], 0x20
	s_load_b128 s[8:11], s[0:1], 0x10
	s_wait_kmcnt 0x0
	s_cmp_eq_u32 s6, 1
	s_cselect_b32 s6, s2, s3
	s_delay_alu instid0(SALU_CYCLE_1) | instskip(NEXT) | instid1(SALU_CYCLE_1)
	s_abs_i32 s7, s6
	s_cvt_f32_u32 s2, s7
	s_sub_co_i32 s3, 0, s7
	s_delay_alu instid0(SALU_CYCLE_2) | instskip(SKIP_1) | instid1(TRANS32_DEP_1)
	v_rcp_iflag_f32_e32 v1, s2
	v_nop
	v_readfirstlane_b32 s2, v1
	v_sub_nc_u32_e32 v1, 0, v0
	s_mul_f32 s2, s2, 0x4f7ffffe
	s_delay_alu instid0(VALU_DEP_1) | instskip(NEXT) | instid1(SALU_CYCLE_2)
	v_max_i32_e32 v1, v0, v1
	s_cvt_u32_f32 s2, s2
	s_delay_alu instid0(SALU_CYCLE_3) | instskip(NEXT) | instid1(SALU_CYCLE_1)
	s_mul_i32 s3, s3, s2
	s_mul_hi_u32 s3, s2, s3
	s_delay_alu instid0(SALU_CYCLE_1) | instskip(NEXT) | instid1(SALU_CYCLE_1)
	s_add_co_i32 s2, s2, s3
	v_mul_hi_u32 v2, v1, s2
	s_load_b64 s[2:3], s[0:1], 0x8
	s_delay_alu instid0(VALU_DEP_1) | instskip(NEXT) | instid1(VALU_DEP_1)
	v_mul_lo_u32 v3, v2, s7
	v_dual_sub_nc_u32 v1, v1, v3 :: v_dual_add_nc_u32 v3, 1, v2
	s_delay_alu instid0(VALU_DEP_1) | instskip(NEXT) | instid1(VALU_DEP_2)
	v_cmp_le_u32_e32 vcc_lo, s7, v1
	v_dual_cndmask_b32 v2, v2, v3, vcc_lo :: v_dual_bitop2_b32 v3, s6, v0 bitop3:0x14
	v_subrev_nc_u32_e32 v4, s7, v1
	s_delay_alu instid0(VALU_DEP_1) | instskip(NEXT) | instid1(VALU_DEP_1)
	v_dual_cndmask_b32 v1, v1, v4 :: v_dual_add_nc_u32 v4, 1, v2
	v_cmp_le_u32_e32 vcc_lo, s7, v1
	s_delay_alu instid0(VALU_DEP_2) | instskip(NEXT) | instid1(VALU_DEP_1)
	v_dual_ashrrev_i32 v3, 31, v3 :: v_dual_cndmask_b32 v1, v2, v4, vcc_lo
	v_xor_b32_e32 v1, v1, v3
	s_delay_alu instid0(VALU_DEP_1) | instskip(NEXT) | instid1(VALU_DEP_1)
	v_sub_nc_u32_e32 v2, v1, v3
	v_mul_lo_u32 v1, v2, s6
	s_delay_alu instid0(VALU_DEP_1) | instskip(NEXT) | instid1(VALU_DEP_1)
	v_dual_sub_nc_u32 v0, v0, v1 :: v_dual_ashrrev_i32 v3, 31, v2
	v_ashrrev_i32_e32 v1, 31, v0
	s_wait_kmcnt 0x0
	s_delay_alu instid0(VALU_DEP_2) | instskip(NEXT) | instid1(VALU_DEP_1)
	v_mul_u64_e32 v[4:5], s[2:3], v[2:3]
	v_lshl_add_u64 v[2:3], v[4:5], 4, s[4:5]
	s_delay_alu instid0(VALU_DEP_1)
	v_lshl_add_u64 v[4:5], v[0:1], 4, v[2:3]
	v_mov_b64_e32 v[0:1], s[8:9]
	v_mov_b64_e32 v[2:3], s[10:11]
	global_store_b128 v[4:5], v[0:3], off
.LBB41_2:
	s_endpgm
	.section	.rodata,"a",@progbits
	.p2align	6, 0x0
	.amdhsa_kernel _ZN9rocsparseL16valset_2d_kernelILj256Ei21rocsparse_complex_numIdEEEvT0_S3_lT1_PS4_16rocsparse_order_
		.amdhsa_group_segment_fixed_size 0
		.amdhsa_private_segment_fixed_size 0
		.amdhsa_kernarg_size 44
		.amdhsa_user_sgpr_count 2
		.amdhsa_user_sgpr_dispatch_ptr 0
		.amdhsa_user_sgpr_queue_ptr 0
		.amdhsa_user_sgpr_kernarg_segment_ptr 1
		.amdhsa_user_sgpr_dispatch_id 0
		.amdhsa_user_sgpr_kernarg_preload_length 0
		.amdhsa_user_sgpr_kernarg_preload_offset 0
		.amdhsa_user_sgpr_private_segment_size 0
		.amdhsa_wavefront_size32 1
		.amdhsa_uses_dynamic_stack 0
		.amdhsa_enable_private_segment 0
		.amdhsa_system_sgpr_workgroup_id_x 1
		.amdhsa_system_sgpr_workgroup_id_y 0
		.amdhsa_system_sgpr_workgroup_id_z 0
		.amdhsa_system_sgpr_workgroup_info 0
		.amdhsa_system_vgpr_workitem_id 0
		.amdhsa_next_free_vgpr 6
		.amdhsa_next_free_sgpr 12
		.amdhsa_named_barrier_count 0
		.amdhsa_reserve_vcc 1
		.amdhsa_float_round_mode_32 0
		.amdhsa_float_round_mode_16_64 0
		.amdhsa_float_denorm_mode_32 3
		.amdhsa_float_denorm_mode_16_64 3
		.amdhsa_fp16_overflow 0
		.amdhsa_memory_ordered 1
		.amdhsa_forward_progress 1
		.amdhsa_inst_pref_size 3
		.amdhsa_round_robin_scheduling 0
		.amdhsa_exception_fp_ieee_invalid_op 0
		.amdhsa_exception_fp_denorm_src 0
		.amdhsa_exception_fp_ieee_div_zero 0
		.amdhsa_exception_fp_ieee_overflow 0
		.amdhsa_exception_fp_ieee_underflow 0
		.amdhsa_exception_fp_ieee_inexact 0
		.amdhsa_exception_int_div_zero 0
	.end_amdhsa_kernel
	.section	.text._ZN9rocsparseL16valset_2d_kernelILj256Ei21rocsparse_complex_numIdEEEvT0_S3_lT1_PS4_16rocsparse_order_,"axG",@progbits,_ZN9rocsparseL16valset_2d_kernelILj256Ei21rocsparse_complex_numIdEEEvT0_S3_lT1_PS4_16rocsparse_order_,comdat
.Lfunc_end41:
	.size	_ZN9rocsparseL16valset_2d_kernelILj256Ei21rocsparse_complex_numIdEEEvT0_S3_lT1_PS4_16rocsparse_order_, .Lfunc_end41-_ZN9rocsparseL16valset_2d_kernelILj256Ei21rocsparse_complex_numIdEEEvT0_S3_lT1_PS4_16rocsparse_order_
                                        ; -- End function
	.set _ZN9rocsparseL16valset_2d_kernelILj256Ei21rocsparse_complex_numIdEEEvT0_S3_lT1_PS4_16rocsparse_order_.num_vgpr, 6
	.set _ZN9rocsparseL16valset_2d_kernelILj256Ei21rocsparse_complex_numIdEEEvT0_S3_lT1_PS4_16rocsparse_order_.num_agpr, 0
	.set _ZN9rocsparseL16valset_2d_kernelILj256Ei21rocsparse_complex_numIdEEEvT0_S3_lT1_PS4_16rocsparse_order_.numbered_sgpr, 12
	.set _ZN9rocsparseL16valset_2d_kernelILj256Ei21rocsparse_complex_numIdEEEvT0_S3_lT1_PS4_16rocsparse_order_.num_named_barrier, 0
	.set _ZN9rocsparseL16valset_2d_kernelILj256Ei21rocsparse_complex_numIdEEEvT0_S3_lT1_PS4_16rocsparse_order_.private_seg_size, 0
	.set _ZN9rocsparseL16valset_2d_kernelILj256Ei21rocsparse_complex_numIdEEEvT0_S3_lT1_PS4_16rocsparse_order_.uses_vcc, 1
	.set _ZN9rocsparseL16valset_2d_kernelILj256Ei21rocsparse_complex_numIdEEEvT0_S3_lT1_PS4_16rocsparse_order_.uses_flat_scratch, 0
	.set _ZN9rocsparseL16valset_2d_kernelILj256Ei21rocsparse_complex_numIdEEEvT0_S3_lT1_PS4_16rocsparse_order_.has_dyn_sized_stack, 0
	.set _ZN9rocsparseL16valset_2d_kernelILj256Ei21rocsparse_complex_numIdEEEvT0_S3_lT1_PS4_16rocsparse_order_.has_recursion, 0
	.set _ZN9rocsparseL16valset_2d_kernelILj256Ei21rocsparse_complex_numIdEEEvT0_S3_lT1_PS4_16rocsparse_order_.has_indirect_call, 0
	.section	.AMDGPU.csdata,"",@progbits
; Kernel info:
; codeLenInByte = 380
; TotalNumSgprs: 14
; NumVgprs: 6
; ScratchSize: 0
; MemoryBound: 0
; FloatMode: 240
; IeeeMode: 1
; LDSByteSize: 0 bytes/workgroup (compile time only)
; SGPRBlocks: 0
; VGPRBlocks: 0
; NumSGPRsForWavesPerEU: 14
; NumVGPRsForWavesPerEU: 6
; NamedBarCnt: 0
; Occupancy: 16
; WaveLimiterHint : 0
; COMPUTE_PGM_RSRC2:SCRATCH_EN: 0
; COMPUTE_PGM_RSRC2:USER_SGPR: 2
; COMPUTE_PGM_RSRC2:TRAP_HANDLER: 0
; COMPUTE_PGM_RSRC2:TGID_X_EN: 1
; COMPUTE_PGM_RSRC2:TGID_Y_EN: 0
; COMPUTE_PGM_RSRC2:TGID_Z_EN: 0
; COMPUTE_PGM_RSRC2:TIDIG_COMP_CNT: 0
	.section	.text._ZN9rocsparseL16valset_2d_kernelILj256ElDF16_EEvT0_S1_lT1_PS2_16rocsparse_order_,"axG",@progbits,_ZN9rocsparseL16valset_2d_kernelILj256ElDF16_EEvT0_S1_lT1_PS2_16rocsparse_order_,comdat
	.globl	_ZN9rocsparseL16valset_2d_kernelILj256ElDF16_EEvT0_S1_lT1_PS2_16rocsparse_order_ ; -- Begin function _ZN9rocsparseL16valset_2d_kernelILj256ElDF16_EEvT0_S1_lT1_PS2_16rocsparse_order_
	.p2align	8
	.type	_ZN9rocsparseL16valset_2d_kernelILj256ElDF16_EEvT0_S1_lT1_PS2_16rocsparse_order_,@function
_ZN9rocsparseL16valset_2d_kernelILj256ElDF16_EEvT0_S1_lT1_PS2_16rocsparse_order_: ; @_ZN9rocsparseL16valset_2d_kernelILj256ElDF16_EEvT0_S1_lT1_PS2_16rocsparse_order_
; %bb.0:
	s_load_b128 s[4:7], s[0:1], 0x0
	s_bfe_u32 s2, ttmp6, 0x4000c
	s_and_b32 s3, ttmp6, 15
	s_add_co_i32 s2, s2, 1
	s_getreg_b32 s8, hwreg(HW_REG_IB_STS2, 6, 4)
	s_mul_i32 s2, ttmp9, s2
	v_mov_b32_e32 v1, 0
	s_add_co_i32 s3, s3, s2
	s_cmp_eq_u32 s8, 0
	s_cselect_b32 s2, ttmp9, s3
	s_delay_alu instid0(SALU_CYCLE_1)
	v_lshl_or_b32 v0, s2, 8, v0
	s_wait_kmcnt 0x0
	s_mul_u64 s[2:3], s[6:7], s[4:5]
	s_delay_alu instid0(VALU_DEP_1) | instid1(SALU_CYCLE_1)
	v_cmp_gt_i64_e32 vcc_lo, s[2:3], v[0:1]
	s_and_saveexec_b32 s2, vcc_lo
	s_cbranch_execz .LBB42_5
; %bb.1:
	s_clause 0x1
	s_load_b32 s2, s[0:1], 0x28
	s_load_b64 s[8:9], s[0:1], 0x10
	s_wait_kmcnt 0x0
	s_cmp_eq_u32 s2, 1
	s_cselect_b32 s5, s5, s7
	s_cselect_b32 s4, s4, s6
	s_delay_alu instid0(SALU_CYCLE_1) | instskip(NEXT) | instid1(SALU_CYCLE_1)
	s_and_b64 s[2:3], s[4:5], 0xffffffff00000000
	s_cmp_lg_u64 s[2:3], 0
	s_cbranch_scc0 .LBB42_6
; %bb.2:
	s_ashr_i32 s6, s5, 31
	v_add_nc_u64_e32 v[2:3], 0, v[0:1]
	s_mov_b32 s7, s6
	v_mov_b32_e32 v5, 0
	s_add_nc_u64 s[2:3], s[4:5], s[6:7]
	s_delay_alu instid0(SALU_CYCLE_1) | instskip(NEXT) | instid1(VALU_DEP_2)
	s_xor_b64 s[10:11], s[2:3], s[6:7]
	v_mov_b32_e32 v4, v2
	s_cvt_f32_u32 s2, s10
	s_cvt_f32_u32 s3, s11
	s_sub_nc_u64 s[14:15], 0, s[10:11]
	s_delay_alu instid0(SALU_CYCLE_2) | instskip(NEXT) | instid1(SALU_CYCLE_3)
	s_fmamk_f32 s2, s3, 0x4f800000, s2
	v_s_rcp_f32 s2, s2
	s_delay_alu instid0(TRANS32_DEP_1) | instskip(NEXT) | instid1(SALU_CYCLE_3)
	s_mul_f32 s2, s2, 0x5f7ffffc
	s_mul_f32 s3, s2, 0x2f800000
	s_delay_alu instid0(SALU_CYCLE_3) | instskip(NEXT) | instid1(SALU_CYCLE_3)
	s_trunc_f32 s3, s3
	s_fmamk_f32 s2, s3, 0xcf800000, s2
	s_cvt_u32_f32 s13, s3
	s_mov_b32 s3, 0
	s_delay_alu instid0(SALU_CYCLE_1) | instskip(NEXT) | instid1(SALU_CYCLE_3)
	s_cvt_u32_f32 s12, s2
	s_mul_u64 s[16:17], s[14:15], s[12:13]
	s_delay_alu instid0(SALU_CYCLE_1)
	s_mul_hi_u32 s19, s12, s17
	s_mul_i32 s18, s12, s17
	s_mul_hi_u32 s2, s12, s16
	s_mul_i32 s20, s13, s16
	s_add_nc_u64 s[18:19], s[2:3], s[18:19]
	s_mul_hi_u32 s7, s13, s16
	s_mul_hi_u32 s21, s13, s17
	s_add_co_u32 s2, s18, s20
	s_add_co_ci_u32 s2, s19, s7
	s_mul_i32 s16, s13, s17
	s_add_co_ci_u32 s17, s21, 0
	s_delay_alu instid0(SALU_CYCLE_1) | instskip(NEXT) | instid1(SALU_CYCLE_1)
	s_add_nc_u64 s[16:17], s[2:3], s[16:17]
	s_add_co_u32 s12, s12, s16
	s_cselect_b32 s2, -1, 0
	s_delay_alu instid0(SALU_CYCLE_1) | instskip(SKIP_1) | instid1(SALU_CYCLE_1)
	s_cmp_lg_u32 s2, 0
	s_add_co_ci_u32 s13, s13, s17
	s_mul_u64 s[14:15], s[14:15], s[12:13]
	s_delay_alu instid0(SALU_CYCLE_1)
	s_mul_hi_u32 s17, s12, s15
	s_mul_i32 s16, s12, s15
	s_mul_hi_u32 s2, s12, s14
	s_mul_i32 s18, s13, s14
	s_add_nc_u64 s[16:17], s[2:3], s[16:17]
	s_mul_hi_u32 s7, s13, s14
	s_mul_hi_u32 s19, s13, s15
	s_add_co_u32 s2, s16, s18
	s_add_co_ci_u32 s2, s17, s7
	s_mul_i32 s14, s13, s15
	s_add_co_ci_u32 s15, s19, 0
	s_delay_alu instid0(SALU_CYCLE_1) | instskip(NEXT) | instid1(SALU_CYCLE_1)
	s_add_nc_u64 s[14:15], s[2:3], s[14:15]
	s_add_co_u32 s12, s12, s14
	s_cselect_b32 s2, -1, 0
	s_delay_alu instid0(SALU_CYCLE_1)
	s_cmp_lg_u32 s2, 0
	s_add_co_ci_u32 s2, s13, s15
	s_mov_b64 s[14:15], 0xffffffff
	v_nop
	v_mul_u64_e32 v[6:7], s[2:3], v[4:5]
	v_mul_hi_u32 v4, v2, s12
	s_and_b64 s[12:13], s[12:13], s[14:15]
	s_delay_alu instid0(VALU_DEP_1) | instskip(SKIP_1) | instid1(VALU_DEP_1)
	v_add_nc_u64_e32 v[6:7], v[4:5], v[6:7]
	v_mov_b32_e32 v4, v3
	v_mul_u64_e32 v[8:9], s[12:13], v[4:5]
	v_mul_u64_e32 v[10:11], s[2:3], v[4:5]
	s_delay_alu instid0(VALU_DEP_2) | instskip(NEXT) | instid1(VALU_DEP_3)
	v_add_co_u32 v4, vcc_lo, v6, v8
	v_add_co_ci_u32_e32 v4, vcc_lo, v7, v9, vcc_lo
	s_delay_alu instid0(VALU_DEP_3) | instskip(NEXT) | instid1(VALU_DEP_1)
	v_add_co_ci_u32_e32 v11, vcc_lo, 0, v11, vcc_lo
	v_add_nc_u64_e32 v[4:5], v[4:5], v[10:11]
	s_delay_alu instid0(VALU_DEP_1) | instskip(NEXT) | instid1(VALU_DEP_1)
	v_mul_u64_e32 v[6:7], s[10:11], v[4:5]
	v_sub_nc_u32_e32 v8, v3, v7
	s_delay_alu instid0(VALU_DEP_2) | instskip(NEXT) | instid1(VALU_DEP_1)
	v_sub_co_u32 v2, vcc_lo, v2, v6
	v_sub_co_ci_u32_e64 v7, null, v3, v7, vcc_lo
	s_delay_alu instid0(VALU_DEP_3) | instskip(NEXT) | instid1(VALU_DEP_3)
	v_subrev_co_ci_u32_e64 v6, null, s11, v8, vcc_lo
	v_sub_co_u32 v10, s2, v2, s10
	v_cmp_le_u32_e32 vcc_lo, s10, v2
	s_delay_alu instid0(VALU_DEP_3) | instskip(NEXT) | instid1(VALU_DEP_3)
	v_subrev_co_ci_u32_e64 v6, null, 0, v6, s2
	v_cmp_le_u32_e64 s2, s10, v10
	v_add_nc_u64_e32 v[8:9], 2, v[4:5]
	v_cndmask_b32_e64 v12, 0, -1, vcc_lo
	s_delay_alu instid0(VALU_DEP_4) | instskip(SKIP_3) | instid1(VALU_DEP_1)
	v_cmp_eq_u32_e32 vcc_lo, s11, v6
	v_add_nc_u64_e32 v[2:3], 1, v[4:5]
	v_cndmask_b32_e64 v10, 0, -1, s2
	v_cmp_le_u32_e64 s2, s11, v6
	v_cndmask_b32_e64 v11, 0, -1, s2
	v_cmp_eq_u32_e64 s2, s11, v7
	s_delay_alu instid0(VALU_DEP_2) | instskip(SKIP_2) | instid1(VALU_DEP_3)
	v_cndmask_b32_e32 v6, v11, v10, vcc_lo
	v_cmp_le_u32_e32 vcc_lo, s11, v7
	v_cndmask_b32_e64 v10, 0, -1, vcc_lo
	v_cmp_ne_u32_e32 vcc_lo, 0, v6
	s_delay_alu instid0(VALU_DEP_2) | instskip(SKIP_1) | instid1(VALU_DEP_2)
	v_dual_cndmask_b32 v6, v10, v12, s2 :: v_dual_cndmask_b32 v3, v3, v9, vcc_lo
	v_cndmask_b32_e32 v2, v2, v8, vcc_lo
	v_cmp_ne_u32_e32 vcc_lo, 0, v6
	s_delay_alu instid0(VALU_DEP_2) | instskip(SKIP_1) | instid1(VALU_DEP_2)
	v_dual_cndmask_b32 v5, v5, v3 :: v_dual_cndmask_b32 v4, v4, v2
	v_dual_mov_b32 v3, s6 :: v_dual_mov_b32 v2, s6
	v_xor_b32_e32 v5, s6, v5
	s_delay_alu instid0(VALU_DEP_3) | instskip(NEXT) | instid1(VALU_DEP_1)
	v_xor_b32_e32 v4, s6, v4
	v_sub_nc_u64_e32 v[2:3], v[4:5], v[2:3]
	s_cbranch_execnz .LBB42_4
.LBB42_3:
	v_cvt_f32_u32_e32 v2, s4
	s_sub_co_i32 s2, 0, s4
	s_delay_alu instid0(VALU_DEP_1) | instskip(SKIP_1) | instid1(TRANS32_DEP_1)
	v_rcp_iflag_f32_e32 v2, v2
	v_nop
	v_mul_f32_e32 v2, 0x4f7ffffe, v2
	s_delay_alu instid0(VALU_DEP_1) | instskip(NEXT) | instid1(VALU_DEP_1)
	v_cvt_u32_f32_e32 v2, v2
	v_mul_lo_u32 v3, s2, v2
	s_delay_alu instid0(VALU_DEP_1) | instskip(NEXT) | instid1(VALU_DEP_1)
	v_mul_hi_u32 v3, v2, v3
	v_add_nc_u32_e32 v2, v2, v3
	s_delay_alu instid0(VALU_DEP_1) | instskip(NEXT) | instid1(VALU_DEP_1)
	v_mul_hi_u32 v2, v0, v2
	v_mul_lo_u32 v3, v2, s4
	s_delay_alu instid0(VALU_DEP_1) | instskip(NEXT) | instid1(VALU_DEP_1)
	v_dual_add_nc_u32 v4, 1, v2 :: v_dual_sub_nc_u32 v3, v0, v3
	v_subrev_nc_u32_e32 v5, s4, v3
	v_cmp_le_u32_e32 vcc_lo, s4, v3
	s_delay_alu instid0(VALU_DEP_2) | instskip(NEXT) | instid1(VALU_DEP_1)
	v_dual_cndmask_b32 v3, v3, v5 :: v_dual_cndmask_b32 v2, v2, v4
	v_cmp_le_u32_e32 vcc_lo, s4, v3
	s_delay_alu instid0(VALU_DEP_2) | instskip(NEXT) | instid1(VALU_DEP_1)
	v_dual_mov_b32 v3, 0 :: v_dual_add_nc_u32 v4, 1, v2
	v_cndmask_b32_e32 v2, v2, v4, vcc_lo
.LBB42_4:
	s_delay_alu instid0(VALU_DEP_1) | instskip(SKIP_4) | instid1(VALU_DEP_2)
	v_mul_u64_e32 v[4:5], s[4:5], v[2:3]
	v_mul_u64_e32 v[2:3], s[8:9], v[2:3]
	s_clause 0x1
	s_load_b64 s[2:3], s[0:1], 0x20
	s_load_b32 s4, s[0:1], 0x18
	v_sub_nc_u64_e32 v[0:1], v[0:1], v[4:5]
	s_wait_kmcnt 0x0
	s_delay_alu instid0(VALU_DEP_1) | instskip(NEXT) | instid1(VALU_DEP_1)
	v_lshl_add_u64 v[0:1], v[0:1], 1, s[2:3]
	v_lshl_add_u64 v[0:1], v[2:3], 1, v[0:1]
	v_mov_b32_e32 v2, s4
	global_store_b16 v[0:1], v2, off
.LBB42_5:
	s_endpgm
.LBB42_6:
                                        ; implicit-def: $vgpr2_vgpr3
	s_branch .LBB42_3
	.section	.rodata,"a",@progbits
	.p2align	6, 0x0
	.amdhsa_kernel _ZN9rocsparseL16valset_2d_kernelILj256ElDF16_EEvT0_S1_lT1_PS2_16rocsparse_order_
		.amdhsa_group_segment_fixed_size 0
		.amdhsa_private_segment_fixed_size 0
		.amdhsa_kernarg_size 44
		.amdhsa_user_sgpr_count 2
		.amdhsa_user_sgpr_dispatch_ptr 0
		.amdhsa_user_sgpr_queue_ptr 0
		.amdhsa_user_sgpr_kernarg_segment_ptr 1
		.amdhsa_user_sgpr_dispatch_id 0
		.amdhsa_user_sgpr_kernarg_preload_length 0
		.amdhsa_user_sgpr_kernarg_preload_offset 0
		.amdhsa_user_sgpr_private_segment_size 0
		.amdhsa_wavefront_size32 1
		.amdhsa_uses_dynamic_stack 0
		.amdhsa_enable_private_segment 0
		.amdhsa_system_sgpr_workgroup_id_x 1
		.amdhsa_system_sgpr_workgroup_id_y 0
		.amdhsa_system_sgpr_workgroup_id_z 0
		.amdhsa_system_sgpr_workgroup_info 0
		.amdhsa_system_vgpr_workitem_id 0
		.amdhsa_next_free_vgpr 13
		.amdhsa_next_free_sgpr 22
		.amdhsa_named_barrier_count 0
		.amdhsa_reserve_vcc 1
		.amdhsa_float_round_mode_32 0
		.amdhsa_float_round_mode_16_64 0
		.amdhsa_float_denorm_mode_32 3
		.amdhsa_float_denorm_mode_16_64 3
		.amdhsa_fp16_overflow 0
		.amdhsa_memory_ordered 1
		.amdhsa_forward_progress 1
		.amdhsa_inst_pref_size 8
		.amdhsa_round_robin_scheduling 0
		.amdhsa_exception_fp_ieee_invalid_op 0
		.amdhsa_exception_fp_denorm_src 0
		.amdhsa_exception_fp_ieee_div_zero 0
		.amdhsa_exception_fp_ieee_overflow 0
		.amdhsa_exception_fp_ieee_underflow 0
		.amdhsa_exception_fp_ieee_inexact 0
		.amdhsa_exception_int_div_zero 0
	.end_amdhsa_kernel
	.section	.text._ZN9rocsparseL16valset_2d_kernelILj256ElDF16_EEvT0_S1_lT1_PS2_16rocsparse_order_,"axG",@progbits,_ZN9rocsparseL16valset_2d_kernelILj256ElDF16_EEvT0_S1_lT1_PS2_16rocsparse_order_,comdat
.Lfunc_end42:
	.size	_ZN9rocsparseL16valset_2d_kernelILj256ElDF16_EEvT0_S1_lT1_PS2_16rocsparse_order_, .Lfunc_end42-_ZN9rocsparseL16valset_2d_kernelILj256ElDF16_EEvT0_S1_lT1_PS2_16rocsparse_order_
                                        ; -- End function
	.set _ZN9rocsparseL16valset_2d_kernelILj256ElDF16_EEvT0_S1_lT1_PS2_16rocsparse_order_.num_vgpr, 13
	.set _ZN9rocsparseL16valset_2d_kernelILj256ElDF16_EEvT0_S1_lT1_PS2_16rocsparse_order_.num_agpr, 0
	.set _ZN9rocsparseL16valset_2d_kernelILj256ElDF16_EEvT0_S1_lT1_PS2_16rocsparse_order_.numbered_sgpr, 22
	.set _ZN9rocsparseL16valset_2d_kernelILj256ElDF16_EEvT0_S1_lT1_PS2_16rocsparse_order_.num_named_barrier, 0
	.set _ZN9rocsparseL16valset_2d_kernelILj256ElDF16_EEvT0_S1_lT1_PS2_16rocsparse_order_.private_seg_size, 0
	.set _ZN9rocsparseL16valset_2d_kernelILj256ElDF16_EEvT0_S1_lT1_PS2_16rocsparse_order_.uses_vcc, 1
	.set _ZN9rocsparseL16valset_2d_kernelILj256ElDF16_EEvT0_S1_lT1_PS2_16rocsparse_order_.uses_flat_scratch, 0
	.set _ZN9rocsparseL16valset_2d_kernelILj256ElDF16_EEvT0_S1_lT1_PS2_16rocsparse_order_.has_dyn_sized_stack, 0
	.set _ZN9rocsparseL16valset_2d_kernelILj256ElDF16_EEvT0_S1_lT1_PS2_16rocsparse_order_.has_recursion, 0
	.set _ZN9rocsparseL16valset_2d_kernelILj256ElDF16_EEvT0_S1_lT1_PS2_16rocsparse_order_.has_indirect_call, 0
	.section	.AMDGPU.csdata,"",@progbits
; Kernel info:
; codeLenInByte = 936
; TotalNumSgprs: 24
; NumVgprs: 13
; ScratchSize: 0
; MemoryBound: 0
; FloatMode: 240
; IeeeMode: 1
; LDSByteSize: 0 bytes/workgroup (compile time only)
; SGPRBlocks: 0
; VGPRBlocks: 0
; NumSGPRsForWavesPerEU: 24
; NumVGPRsForWavesPerEU: 13
; NamedBarCnt: 0
; Occupancy: 16
; WaveLimiterHint : 0
; COMPUTE_PGM_RSRC2:SCRATCH_EN: 0
; COMPUTE_PGM_RSRC2:USER_SGPR: 2
; COMPUTE_PGM_RSRC2:TRAP_HANDLER: 0
; COMPUTE_PGM_RSRC2:TGID_X_EN: 1
; COMPUTE_PGM_RSRC2:TGID_Y_EN: 0
; COMPUTE_PGM_RSRC2:TGID_Z_EN: 0
; COMPUTE_PGM_RSRC2:TIDIG_COMP_CNT: 0
	.section	.text._ZN9rocsparseL16valset_2d_kernelILj256El18rocsparse_bfloat16EEvT0_S2_lT1_PS3_16rocsparse_order_,"axG",@progbits,_ZN9rocsparseL16valset_2d_kernelILj256El18rocsparse_bfloat16EEvT0_S2_lT1_PS3_16rocsparse_order_,comdat
	.globl	_ZN9rocsparseL16valset_2d_kernelILj256El18rocsparse_bfloat16EEvT0_S2_lT1_PS3_16rocsparse_order_ ; -- Begin function _ZN9rocsparseL16valset_2d_kernelILj256El18rocsparse_bfloat16EEvT0_S2_lT1_PS3_16rocsparse_order_
	.p2align	8
	.type	_ZN9rocsparseL16valset_2d_kernelILj256El18rocsparse_bfloat16EEvT0_S2_lT1_PS3_16rocsparse_order_,@function
_ZN9rocsparseL16valset_2d_kernelILj256El18rocsparse_bfloat16EEvT0_S2_lT1_PS3_16rocsparse_order_: ; @_ZN9rocsparseL16valset_2d_kernelILj256El18rocsparse_bfloat16EEvT0_S2_lT1_PS3_16rocsparse_order_
; %bb.0:
	s_load_b128 s[4:7], s[0:1], 0x0
	s_bfe_u32 s2, ttmp6, 0x4000c
	s_and_b32 s3, ttmp6, 15
	s_add_co_i32 s2, s2, 1
	s_getreg_b32 s8, hwreg(HW_REG_IB_STS2, 6, 4)
	s_mul_i32 s2, ttmp9, s2
	v_mov_b32_e32 v1, 0
	s_add_co_i32 s3, s3, s2
	s_cmp_eq_u32 s8, 0
	s_cselect_b32 s2, ttmp9, s3
	s_delay_alu instid0(SALU_CYCLE_1)
	v_lshl_or_b32 v0, s2, 8, v0
	s_wait_kmcnt 0x0
	s_mul_u64 s[2:3], s[6:7], s[4:5]
	s_delay_alu instid0(VALU_DEP_1) | instid1(SALU_CYCLE_1)
	v_cmp_gt_i64_e32 vcc_lo, s[2:3], v[0:1]
	s_and_saveexec_b32 s2, vcc_lo
	s_cbranch_execz .LBB43_5
; %bb.1:
	s_clause 0x1
	s_load_b32 s2, s[0:1], 0x28
	s_load_b64 s[8:9], s[0:1], 0x10
	s_wait_kmcnt 0x0
	s_cmp_eq_u32 s2, 1
	s_cselect_b32 s5, s5, s7
	s_cselect_b32 s4, s4, s6
	s_delay_alu instid0(SALU_CYCLE_1) | instskip(NEXT) | instid1(SALU_CYCLE_1)
	s_and_b64 s[2:3], s[4:5], 0xffffffff00000000
	s_cmp_lg_u64 s[2:3], 0
	s_cbranch_scc0 .LBB43_6
; %bb.2:
	s_ashr_i32 s6, s5, 31
	v_add_nc_u64_e32 v[2:3], 0, v[0:1]
	s_mov_b32 s7, s6
	v_mov_b32_e32 v5, 0
	s_add_nc_u64 s[2:3], s[4:5], s[6:7]
	s_delay_alu instid0(SALU_CYCLE_1) | instskip(NEXT) | instid1(VALU_DEP_2)
	s_xor_b64 s[10:11], s[2:3], s[6:7]
	v_mov_b32_e32 v4, v2
	s_cvt_f32_u32 s2, s10
	s_cvt_f32_u32 s3, s11
	s_sub_nc_u64 s[14:15], 0, s[10:11]
	s_delay_alu instid0(SALU_CYCLE_2) | instskip(NEXT) | instid1(SALU_CYCLE_3)
	s_fmamk_f32 s2, s3, 0x4f800000, s2
	v_s_rcp_f32 s2, s2
	s_delay_alu instid0(TRANS32_DEP_1) | instskip(NEXT) | instid1(SALU_CYCLE_3)
	s_mul_f32 s2, s2, 0x5f7ffffc
	s_mul_f32 s3, s2, 0x2f800000
	s_delay_alu instid0(SALU_CYCLE_3) | instskip(NEXT) | instid1(SALU_CYCLE_3)
	s_trunc_f32 s3, s3
	s_fmamk_f32 s2, s3, 0xcf800000, s2
	s_cvt_u32_f32 s13, s3
	s_mov_b32 s3, 0
	s_delay_alu instid0(SALU_CYCLE_1) | instskip(NEXT) | instid1(SALU_CYCLE_3)
	s_cvt_u32_f32 s12, s2
	s_mul_u64 s[16:17], s[14:15], s[12:13]
	s_delay_alu instid0(SALU_CYCLE_1)
	s_mul_hi_u32 s19, s12, s17
	s_mul_i32 s18, s12, s17
	s_mul_hi_u32 s2, s12, s16
	s_mul_i32 s20, s13, s16
	s_add_nc_u64 s[18:19], s[2:3], s[18:19]
	s_mul_hi_u32 s7, s13, s16
	s_mul_hi_u32 s21, s13, s17
	s_add_co_u32 s2, s18, s20
	s_add_co_ci_u32 s2, s19, s7
	s_mul_i32 s16, s13, s17
	s_add_co_ci_u32 s17, s21, 0
	s_delay_alu instid0(SALU_CYCLE_1) | instskip(NEXT) | instid1(SALU_CYCLE_1)
	s_add_nc_u64 s[16:17], s[2:3], s[16:17]
	s_add_co_u32 s12, s12, s16
	s_cselect_b32 s2, -1, 0
	s_delay_alu instid0(SALU_CYCLE_1) | instskip(SKIP_1) | instid1(SALU_CYCLE_1)
	s_cmp_lg_u32 s2, 0
	s_add_co_ci_u32 s13, s13, s17
	s_mul_u64 s[14:15], s[14:15], s[12:13]
	s_delay_alu instid0(SALU_CYCLE_1)
	s_mul_hi_u32 s17, s12, s15
	s_mul_i32 s16, s12, s15
	s_mul_hi_u32 s2, s12, s14
	s_mul_i32 s18, s13, s14
	s_add_nc_u64 s[16:17], s[2:3], s[16:17]
	s_mul_hi_u32 s7, s13, s14
	s_mul_hi_u32 s19, s13, s15
	s_add_co_u32 s2, s16, s18
	s_add_co_ci_u32 s2, s17, s7
	s_mul_i32 s14, s13, s15
	s_add_co_ci_u32 s15, s19, 0
	s_delay_alu instid0(SALU_CYCLE_1) | instskip(NEXT) | instid1(SALU_CYCLE_1)
	s_add_nc_u64 s[14:15], s[2:3], s[14:15]
	s_add_co_u32 s12, s12, s14
	s_cselect_b32 s2, -1, 0
	s_delay_alu instid0(SALU_CYCLE_1)
	s_cmp_lg_u32 s2, 0
	s_add_co_ci_u32 s2, s13, s15
	s_mov_b64 s[14:15], 0xffffffff
	v_nop
	v_mul_u64_e32 v[6:7], s[2:3], v[4:5]
	v_mul_hi_u32 v4, v2, s12
	s_and_b64 s[12:13], s[12:13], s[14:15]
	s_delay_alu instid0(VALU_DEP_1) | instskip(SKIP_1) | instid1(VALU_DEP_1)
	v_add_nc_u64_e32 v[6:7], v[4:5], v[6:7]
	v_mov_b32_e32 v4, v3
	v_mul_u64_e32 v[8:9], s[12:13], v[4:5]
	v_mul_u64_e32 v[10:11], s[2:3], v[4:5]
	s_delay_alu instid0(VALU_DEP_2) | instskip(NEXT) | instid1(VALU_DEP_3)
	v_add_co_u32 v4, vcc_lo, v6, v8
	v_add_co_ci_u32_e32 v4, vcc_lo, v7, v9, vcc_lo
	s_delay_alu instid0(VALU_DEP_3) | instskip(NEXT) | instid1(VALU_DEP_1)
	v_add_co_ci_u32_e32 v11, vcc_lo, 0, v11, vcc_lo
	v_add_nc_u64_e32 v[4:5], v[4:5], v[10:11]
	s_delay_alu instid0(VALU_DEP_1) | instskip(NEXT) | instid1(VALU_DEP_1)
	v_mul_u64_e32 v[6:7], s[10:11], v[4:5]
	v_sub_nc_u32_e32 v8, v3, v7
	s_delay_alu instid0(VALU_DEP_2) | instskip(NEXT) | instid1(VALU_DEP_1)
	v_sub_co_u32 v2, vcc_lo, v2, v6
	v_sub_co_ci_u32_e64 v7, null, v3, v7, vcc_lo
	s_delay_alu instid0(VALU_DEP_3) | instskip(NEXT) | instid1(VALU_DEP_3)
	v_subrev_co_ci_u32_e64 v6, null, s11, v8, vcc_lo
	v_sub_co_u32 v10, s2, v2, s10
	v_cmp_le_u32_e32 vcc_lo, s10, v2
	s_delay_alu instid0(VALU_DEP_3) | instskip(NEXT) | instid1(VALU_DEP_3)
	v_subrev_co_ci_u32_e64 v6, null, 0, v6, s2
	v_cmp_le_u32_e64 s2, s10, v10
	v_add_nc_u64_e32 v[8:9], 2, v[4:5]
	v_cndmask_b32_e64 v12, 0, -1, vcc_lo
	s_delay_alu instid0(VALU_DEP_4) | instskip(SKIP_3) | instid1(VALU_DEP_1)
	v_cmp_eq_u32_e32 vcc_lo, s11, v6
	v_add_nc_u64_e32 v[2:3], 1, v[4:5]
	v_cndmask_b32_e64 v10, 0, -1, s2
	v_cmp_le_u32_e64 s2, s11, v6
	v_cndmask_b32_e64 v11, 0, -1, s2
	v_cmp_eq_u32_e64 s2, s11, v7
	s_delay_alu instid0(VALU_DEP_2) | instskip(SKIP_2) | instid1(VALU_DEP_3)
	v_cndmask_b32_e32 v6, v11, v10, vcc_lo
	v_cmp_le_u32_e32 vcc_lo, s11, v7
	v_cndmask_b32_e64 v10, 0, -1, vcc_lo
	v_cmp_ne_u32_e32 vcc_lo, 0, v6
	s_delay_alu instid0(VALU_DEP_2) | instskip(SKIP_1) | instid1(VALU_DEP_2)
	v_dual_cndmask_b32 v6, v10, v12, s2 :: v_dual_cndmask_b32 v3, v3, v9, vcc_lo
	v_cndmask_b32_e32 v2, v2, v8, vcc_lo
	v_cmp_ne_u32_e32 vcc_lo, 0, v6
	s_delay_alu instid0(VALU_DEP_2) | instskip(SKIP_1) | instid1(VALU_DEP_2)
	v_dual_cndmask_b32 v5, v5, v3 :: v_dual_cndmask_b32 v4, v4, v2
	v_dual_mov_b32 v3, s6 :: v_dual_mov_b32 v2, s6
	v_xor_b32_e32 v5, s6, v5
	s_delay_alu instid0(VALU_DEP_3) | instskip(NEXT) | instid1(VALU_DEP_1)
	v_xor_b32_e32 v4, s6, v4
	v_sub_nc_u64_e32 v[2:3], v[4:5], v[2:3]
	s_cbranch_execnz .LBB43_4
.LBB43_3:
	v_cvt_f32_u32_e32 v2, s4
	s_sub_co_i32 s2, 0, s4
	s_delay_alu instid0(VALU_DEP_1) | instskip(SKIP_1) | instid1(TRANS32_DEP_1)
	v_rcp_iflag_f32_e32 v2, v2
	v_nop
	v_mul_f32_e32 v2, 0x4f7ffffe, v2
	s_delay_alu instid0(VALU_DEP_1) | instskip(NEXT) | instid1(VALU_DEP_1)
	v_cvt_u32_f32_e32 v2, v2
	v_mul_lo_u32 v3, s2, v2
	s_delay_alu instid0(VALU_DEP_1) | instskip(NEXT) | instid1(VALU_DEP_1)
	v_mul_hi_u32 v3, v2, v3
	v_add_nc_u32_e32 v2, v2, v3
	s_delay_alu instid0(VALU_DEP_1) | instskip(NEXT) | instid1(VALU_DEP_1)
	v_mul_hi_u32 v2, v0, v2
	v_mul_lo_u32 v3, v2, s4
	s_delay_alu instid0(VALU_DEP_1) | instskip(NEXT) | instid1(VALU_DEP_1)
	v_dual_add_nc_u32 v4, 1, v2 :: v_dual_sub_nc_u32 v3, v0, v3
	v_subrev_nc_u32_e32 v5, s4, v3
	v_cmp_le_u32_e32 vcc_lo, s4, v3
	s_delay_alu instid0(VALU_DEP_2) | instskip(NEXT) | instid1(VALU_DEP_1)
	v_dual_cndmask_b32 v3, v3, v5 :: v_dual_cndmask_b32 v2, v2, v4
	v_cmp_le_u32_e32 vcc_lo, s4, v3
	s_delay_alu instid0(VALU_DEP_2) | instskip(NEXT) | instid1(VALU_DEP_1)
	v_dual_mov_b32 v3, 0 :: v_dual_add_nc_u32 v4, 1, v2
	v_cndmask_b32_e32 v2, v2, v4, vcc_lo
.LBB43_4:
	s_delay_alu instid0(VALU_DEP_1) | instskip(SKIP_4) | instid1(VALU_DEP_2)
	v_mul_u64_e32 v[4:5], s[4:5], v[2:3]
	v_mul_u64_e32 v[2:3], s[8:9], v[2:3]
	s_clause 0x1
	s_load_b64 s[2:3], s[0:1], 0x20
	s_load_b32 s4, s[0:1], 0x18
	v_sub_nc_u64_e32 v[0:1], v[0:1], v[4:5]
	s_wait_kmcnt 0x0
	s_delay_alu instid0(VALU_DEP_1) | instskip(NEXT) | instid1(VALU_DEP_1)
	v_lshl_add_u64 v[0:1], v[0:1], 1, s[2:3]
	v_lshl_add_u64 v[0:1], v[2:3], 1, v[0:1]
	v_mov_b32_e32 v2, s4
	global_store_b16 v[0:1], v2, off
.LBB43_5:
	s_endpgm
.LBB43_6:
                                        ; implicit-def: $vgpr2_vgpr3
	s_branch .LBB43_3
	.section	.rodata,"a",@progbits
	.p2align	6, 0x0
	.amdhsa_kernel _ZN9rocsparseL16valset_2d_kernelILj256El18rocsparse_bfloat16EEvT0_S2_lT1_PS3_16rocsparse_order_
		.amdhsa_group_segment_fixed_size 0
		.amdhsa_private_segment_fixed_size 0
		.amdhsa_kernarg_size 44
		.amdhsa_user_sgpr_count 2
		.amdhsa_user_sgpr_dispatch_ptr 0
		.amdhsa_user_sgpr_queue_ptr 0
		.amdhsa_user_sgpr_kernarg_segment_ptr 1
		.amdhsa_user_sgpr_dispatch_id 0
		.amdhsa_user_sgpr_kernarg_preload_length 0
		.amdhsa_user_sgpr_kernarg_preload_offset 0
		.amdhsa_user_sgpr_private_segment_size 0
		.amdhsa_wavefront_size32 1
		.amdhsa_uses_dynamic_stack 0
		.amdhsa_enable_private_segment 0
		.amdhsa_system_sgpr_workgroup_id_x 1
		.amdhsa_system_sgpr_workgroup_id_y 0
		.amdhsa_system_sgpr_workgroup_id_z 0
		.amdhsa_system_sgpr_workgroup_info 0
		.amdhsa_system_vgpr_workitem_id 0
		.amdhsa_next_free_vgpr 13
		.amdhsa_next_free_sgpr 22
		.amdhsa_named_barrier_count 0
		.amdhsa_reserve_vcc 1
		.amdhsa_float_round_mode_32 0
		.amdhsa_float_round_mode_16_64 0
		.amdhsa_float_denorm_mode_32 3
		.amdhsa_float_denorm_mode_16_64 3
		.amdhsa_fp16_overflow 0
		.amdhsa_memory_ordered 1
		.amdhsa_forward_progress 1
		.amdhsa_inst_pref_size 8
		.amdhsa_round_robin_scheduling 0
		.amdhsa_exception_fp_ieee_invalid_op 0
		.amdhsa_exception_fp_denorm_src 0
		.amdhsa_exception_fp_ieee_div_zero 0
		.amdhsa_exception_fp_ieee_overflow 0
		.amdhsa_exception_fp_ieee_underflow 0
		.amdhsa_exception_fp_ieee_inexact 0
		.amdhsa_exception_int_div_zero 0
	.end_amdhsa_kernel
	.section	.text._ZN9rocsparseL16valset_2d_kernelILj256El18rocsparse_bfloat16EEvT0_S2_lT1_PS3_16rocsparse_order_,"axG",@progbits,_ZN9rocsparseL16valset_2d_kernelILj256El18rocsparse_bfloat16EEvT0_S2_lT1_PS3_16rocsparse_order_,comdat
.Lfunc_end43:
	.size	_ZN9rocsparseL16valset_2d_kernelILj256El18rocsparse_bfloat16EEvT0_S2_lT1_PS3_16rocsparse_order_, .Lfunc_end43-_ZN9rocsparseL16valset_2d_kernelILj256El18rocsparse_bfloat16EEvT0_S2_lT1_PS3_16rocsparse_order_
                                        ; -- End function
	.set _ZN9rocsparseL16valset_2d_kernelILj256El18rocsparse_bfloat16EEvT0_S2_lT1_PS3_16rocsparse_order_.num_vgpr, 13
	.set _ZN9rocsparseL16valset_2d_kernelILj256El18rocsparse_bfloat16EEvT0_S2_lT1_PS3_16rocsparse_order_.num_agpr, 0
	.set _ZN9rocsparseL16valset_2d_kernelILj256El18rocsparse_bfloat16EEvT0_S2_lT1_PS3_16rocsparse_order_.numbered_sgpr, 22
	.set _ZN9rocsparseL16valset_2d_kernelILj256El18rocsparse_bfloat16EEvT0_S2_lT1_PS3_16rocsparse_order_.num_named_barrier, 0
	.set _ZN9rocsparseL16valset_2d_kernelILj256El18rocsparse_bfloat16EEvT0_S2_lT1_PS3_16rocsparse_order_.private_seg_size, 0
	.set _ZN9rocsparseL16valset_2d_kernelILj256El18rocsparse_bfloat16EEvT0_S2_lT1_PS3_16rocsparse_order_.uses_vcc, 1
	.set _ZN9rocsparseL16valset_2d_kernelILj256El18rocsparse_bfloat16EEvT0_S2_lT1_PS3_16rocsparse_order_.uses_flat_scratch, 0
	.set _ZN9rocsparseL16valset_2d_kernelILj256El18rocsparse_bfloat16EEvT0_S2_lT1_PS3_16rocsparse_order_.has_dyn_sized_stack, 0
	.set _ZN9rocsparseL16valset_2d_kernelILj256El18rocsparse_bfloat16EEvT0_S2_lT1_PS3_16rocsparse_order_.has_recursion, 0
	.set _ZN9rocsparseL16valset_2d_kernelILj256El18rocsparse_bfloat16EEvT0_S2_lT1_PS3_16rocsparse_order_.has_indirect_call, 0
	.section	.AMDGPU.csdata,"",@progbits
; Kernel info:
; codeLenInByte = 936
; TotalNumSgprs: 24
; NumVgprs: 13
; ScratchSize: 0
; MemoryBound: 0
; FloatMode: 240
; IeeeMode: 1
; LDSByteSize: 0 bytes/workgroup (compile time only)
; SGPRBlocks: 0
; VGPRBlocks: 0
; NumSGPRsForWavesPerEU: 24
; NumVGPRsForWavesPerEU: 13
; NamedBarCnt: 0
; Occupancy: 16
; WaveLimiterHint : 0
; COMPUTE_PGM_RSRC2:SCRATCH_EN: 0
; COMPUTE_PGM_RSRC2:USER_SGPR: 2
; COMPUTE_PGM_RSRC2:TRAP_HANDLER: 0
; COMPUTE_PGM_RSRC2:TGID_X_EN: 1
; COMPUTE_PGM_RSRC2:TGID_Y_EN: 0
; COMPUTE_PGM_RSRC2:TGID_Z_EN: 0
; COMPUTE_PGM_RSRC2:TIDIG_COMP_CNT: 0
	.section	.text._ZN9rocsparseL16valset_2d_kernelILj256ElfEEvT0_S1_lT1_PS2_16rocsparse_order_,"axG",@progbits,_ZN9rocsparseL16valset_2d_kernelILj256ElfEEvT0_S1_lT1_PS2_16rocsparse_order_,comdat
	.globl	_ZN9rocsparseL16valset_2d_kernelILj256ElfEEvT0_S1_lT1_PS2_16rocsparse_order_ ; -- Begin function _ZN9rocsparseL16valset_2d_kernelILj256ElfEEvT0_S1_lT1_PS2_16rocsparse_order_
	.p2align	8
	.type	_ZN9rocsparseL16valset_2d_kernelILj256ElfEEvT0_S1_lT1_PS2_16rocsparse_order_,@function
_ZN9rocsparseL16valset_2d_kernelILj256ElfEEvT0_S1_lT1_PS2_16rocsparse_order_: ; @_ZN9rocsparseL16valset_2d_kernelILj256ElfEEvT0_S1_lT1_PS2_16rocsparse_order_
; %bb.0:
	s_load_b128 s[4:7], s[0:1], 0x0
	s_bfe_u32 s2, ttmp6, 0x4000c
	s_and_b32 s3, ttmp6, 15
	s_add_co_i32 s2, s2, 1
	s_getreg_b32 s8, hwreg(HW_REG_IB_STS2, 6, 4)
	s_mul_i32 s2, ttmp9, s2
	v_mov_b32_e32 v1, 0
	s_add_co_i32 s3, s3, s2
	s_cmp_eq_u32 s8, 0
	s_cselect_b32 s2, ttmp9, s3
	s_delay_alu instid0(SALU_CYCLE_1)
	v_lshl_or_b32 v0, s2, 8, v0
	s_wait_kmcnt 0x0
	s_mul_u64 s[2:3], s[6:7], s[4:5]
	s_delay_alu instid0(VALU_DEP_1) | instid1(SALU_CYCLE_1)
	v_cmp_gt_i64_e32 vcc_lo, s[2:3], v[0:1]
	s_and_saveexec_b32 s2, vcc_lo
	s_cbranch_execz .LBB44_5
; %bb.1:
	s_clause 0x1
	s_load_b32 s2, s[0:1], 0x28
	s_load_b64 s[8:9], s[0:1], 0x10
	s_wait_kmcnt 0x0
	s_cmp_eq_u32 s2, 1
	s_cselect_b32 s5, s5, s7
	s_cselect_b32 s4, s4, s6
	s_delay_alu instid0(SALU_CYCLE_1) | instskip(NEXT) | instid1(SALU_CYCLE_1)
	s_and_b64 s[2:3], s[4:5], 0xffffffff00000000
	s_cmp_lg_u64 s[2:3], 0
	s_cbranch_scc0 .LBB44_6
; %bb.2:
	s_ashr_i32 s6, s5, 31
	v_add_nc_u64_e32 v[2:3], 0, v[0:1]
	s_mov_b32 s7, s6
	v_mov_b32_e32 v5, 0
	s_add_nc_u64 s[2:3], s[4:5], s[6:7]
	s_delay_alu instid0(SALU_CYCLE_1) | instskip(NEXT) | instid1(VALU_DEP_2)
	s_xor_b64 s[10:11], s[2:3], s[6:7]
	v_mov_b32_e32 v4, v2
	s_cvt_f32_u32 s2, s10
	s_cvt_f32_u32 s3, s11
	s_sub_nc_u64 s[14:15], 0, s[10:11]
	s_delay_alu instid0(SALU_CYCLE_2) | instskip(NEXT) | instid1(SALU_CYCLE_3)
	s_fmamk_f32 s2, s3, 0x4f800000, s2
	v_s_rcp_f32 s2, s2
	s_delay_alu instid0(TRANS32_DEP_1) | instskip(NEXT) | instid1(SALU_CYCLE_3)
	s_mul_f32 s2, s2, 0x5f7ffffc
	s_mul_f32 s3, s2, 0x2f800000
	s_delay_alu instid0(SALU_CYCLE_3) | instskip(NEXT) | instid1(SALU_CYCLE_3)
	s_trunc_f32 s3, s3
	s_fmamk_f32 s2, s3, 0xcf800000, s2
	s_cvt_u32_f32 s13, s3
	s_mov_b32 s3, 0
	s_delay_alu instid0(SALU_CYCLE_1) | instskip(NEXT) | instid1(SALU_CYCLE_3)
	s_cvt_u32_f32 s12, s2
	s_mul_u64 s[16:17], s[14:15], s[12:13]
	s_delay_alu instid0(SALU_CYCLE_1)
	s_mul_hi_u32 s19, s12, s17
	s_mul_i32 s18, s12, s17
	s_mul_hi_u32 s2, s12, s16
	s_mul_i32 s20, s13, s16
	s_add_nc_u64 s[18:19], s[2:3], s[18:19]
	s_mul_hi_u32 s7, s13, s16
	s_mul_hi_u32 s21, s13, s17
	s_add_co_u32 s2, s18, s20
	s_add_co_ci_u32 s2, s19, s7
	s_mul_i32 s16, s13, s17
	s_add_co_ci_u32 s17, s21, 0
	s_delay_alu instid0(SALU_CYCLE_1) | instskip(NEXT) | instid1(SALU_CYCLE_1)
	s_add_nc_u64 s[16:17], s[2:3], s[16:17]
	s_add_co_u32 s12, s12, s16
	s_cselect_b32 s2, -1, 0
	s_delay_alu instid0(SALU_CYCLE_1) | instskip(SKIP_1) | instid1(SALU_CYCLE_1)
	s_cmp_lg_u32 s2, 0
	s_add_co_ci_u32 s13, s13, s17
	s_mul_u64 s[14:15], s[14:15], s[12:13]
	s_delay_alu instid0(SALU_CYCLE_1)
	s_mul_hi_u32 s17, s12, s15
	s_mul_i32 s16, s12, s15
	s_mul_hi_u32 s2, s12, s14
	s_mul_i32 s18, s13, s14
	s_add_nc_u64 s[16:17], s[2:3], s[16:17]
	s_mul_hi_u32 s7, s13, s14
	s_mul_hi_u32 s19, s13, s15
	s_add_co_u32 s2, s16, s18
	s_add_co_ci_u32 s2, s17, s7
	s_mul_i32 s14, s13, s15
	s_add_co_ci_u32 s15, s19, 0
	s_delay_alu instid0(SALU_CYCLE_1) | instskip(NEXT) | instid1(SALU_CYCLE_1)
	s_add_nc_u64 s[14:15], s[2:3], s[14:15]
	s_add_co_u32 s12, s12, s14
	s_cselect_b32 s2, -1, 0
	s_delay_alu instid0(SALU_CYCLE_1)
	s_cmp_lg_u32 s2, 0
	s_add_co_ci_u32 s2, s13, s15
	s_mov_b64 s[14:15], 0xffffffff
	v_nop
	v_mul_u64_e32 v[6:7], s[2:3], v[4:5]
	v_mul_hi_u32 v4, v2, s12
	s_and_b64 s[12:13], s[12:13], s[14:15]
	s_delay_alu instid0(VALU_DEP_1) | instskip(SKIP_1) | instid1(VALU_DEP_1)
	v_add_nc_u64_e32 v[6:7], v[4:5], v[6:7]
	v_mov_b32_e32 v4, v3
	v_mul_u64_e32 v[8:9], s[12:13], v[4:5]
	v_mul_u64_e32 v[10:11], s[2:3], v[4:5]
	s_delay_alu instid0(VALU_DEP_2) | instskip(NEXT) | instid1(VALU_DEP_3)
	v_add_co_u32 v4, vcc_lo, v6, v8
	v_add_co_ci_u32_e32 v4, vcc_lo, v7, v9, vcc_lo
	s_delay_alu instid0(VALU_DEP_3) | instskip(NEXT) | instid1(VALU_DEP_1)
	v_add_co_ci_u32_e32 v11, vcc_lo, 0, v11, vcc_lo
	v_add_nc_u64_e32 v[4:5], v[4:5], v[10:11]
	s_delay_alu instid0(VALU_DEP_1) | instskip(NEXT) | instid1(VALU_DEP_1)
	v_mul_u64_e32 v[6:7], s[10:11], v[4:5]
	v_sub_nc_u32_e32 v8, v3, v7
	s_delay_alu instid0(VALU_DEP_2) | instskip(NEXT) | instid1(VALU_DEP_1)
	v_sub_co_u32 v2, vcc_lo, v2, v6
	v_sub_co_ci_u32_e64 v7, null, v3, v7, vcc_lo
	s_delay_alu instid0(VALU_DEP_3) | instskip(NEXT) | instid1(VALU_DEP_3)
	v_subrev_co_ci_u32_e64 v6, null, s11, v8, vcc_lo
	v_sub_co_u32 v10, s2, v2, s10
	v_cmp_le_u32_e32 vcc_lo, s10, v2
	s_delay_alu instid0(VALU_DEP_3) | instskip(NEXT) | instid1(VALU_DEP_3)
	v_subrev_co_ci_u32_e64 v6, null, 0, v6, s2
	v_cmp_le_u32_e64 s2, s10, v10
	v_add_nc_u64_e32 v[8:9], 2, v[4:5]
	v_cndmask_b32_e64 v12, 0, -1, vcc_lo
	s_delay_alu instid0(VALU_DEP_4) | instskip(SKIP_3) | instid1(VALU_DEP_1)
	v_cmp_eq_u32_e32 vcc_lo, s11, v6
	v_add_nc_u64_e32 v[2:3], 1, v[4:5]
	v_cndmask_b32_e64 v10, 0, -1, s2
	v_cmp_le_u32_e64 s2, s11, v6
	v_cndmask_b32_e64 v11, 0, -1, s2
	v_cmp_eq_u32_e64 s2, s11, v7
	s_delay_alu instid0(VALU_DEP_2) | instskip(SKIP_2) | instid1(VALU_DEP_3)
	v_cndmask_b32_e32 v6, v11, v10, vcc_lo
	v_cmp_le_u32_e32 vcc_lo, s11, v7
	v_cndmask_b32_e64 v10, 0, -1, vcc_lo
	v_cmp_ne_u32_e32 vcc_lo, 0, v6
	s_delay_alu instid0(VALU_DEP_2) | instskip(SKIP_1) | instid1(VALU_DEP_2)
	v_dual_cndmask_b32 v6, v10, v12, s2 :: v_dual_cndmask_b32 v3, v3, v9, vcc_lo
	v_cndmask_b32_e32 v2, v2, v8, vcc_lo
	v_cmp_ne_u32_e32 vcc_lo, 0, v6
	s_delay_alu instid0(VALU_DEP_2) | instskip(SKIP_1) | instid1(VALU_DEP_2)
	v_dual_cndmask_b32 v5, v5, v3 :: v_dual_cndmask_b32 v4, v4, v2
	v_dual_mov_b32 v3, s6 :: v_dual_mov_b32 v2, s6
	v_xor_b32_e32 v5, s6, v5
	s_delay_alu instid0(VALU_DEP_3) | instskip(NEXT) | instid1(VALU_DEP_1)
	v_xor_b32_e32 v4, s6, v4
	v_sub_nc_u64_e32 v[2:3], v[4:5], v[2:3]
	s_cbranch_execnz .LBB44_4
.LBB44_3:
	v_cvt_f32_u32_e32 v2, s4
	s_sub_co_i32 s2, 0, s4
	s_delay_alu instid0(VALU_DEP_1) | instskip(SKIP_1) | instid1(TRANS32_DEP_1)
	v_rcp_iflag_f32_e32 v2, v2
	v_nop
	v_mul_f32_e32 v2, 0x4f7ffffe, v2
	s_delay_alu instid0(VALU_DEP_1) | instskip(NEXT) | instid1(VALU_DEP_1)
	v_cvt_u32_f32_e32 v2, v2
	v_mul_lo_u32 v3, s2, v2
	s_delay_alu instid0(VALU_DEP_1) | instskip(NEXT) | instid1(VALU_DEP_1)
	v_mul_hi_u32 v3, v2, v3
	v_add_nc_u32_e32 v2, v2, v3
	s_delay_alu instid0(VALU_DEP_1) | instskip(NEXT) | instid1(VALU_DEP_1)
	v_mul_hi_u32 v2, v0, v2
	v_mul_lo_u32 v3, v2, s4
	s_delay_alu instid0(VALU_DEP_1) | instskip(NEXT) | instid1(VALU_DEP_1)
	v_dual_add_nc_u32 v4, 1, v2 :: v_dual_sub_nc_u32 v3, v0, v3
	v_subrev_nc_u32_e32 v5, s4, v3
	v_cmp_le_u32_e32 vcc_lo, s4, v3
	s_delay_alu instid0(VALU_DEP_2) | instskip(NEXT) | instid1(VALU_DEP_1)
	v_dual_cndmask_b32 v3, v3, v5 :: v_dual_cndmask_b32 v2, v2, v4
	v_cmp_le_u32_e32 vcc_lo, s4, v3
	s_delay_alu instid0(VALU_DEP_2) | instskip(NEXT) | instid1(VALU_DEP_1)
	v_dual_mov_b32 v3, 0 :: v_dual_add_nc_u32 v4, 1, v2
	v_cndmask_b32_e32 v2, v2, v4, vcc_lo
.LBB44_4:
	s_delay_alu instid0(VALU_DEP_1) | instskip(SKIP_4) | instid1(VALU_DEP_2)
	v_mul_u64_e32 v[4:5], s[4:5], v[2:3]
	v_mul_u64_e32 v[2:3], s[8:9], v[2:3]
	s_clause 0x1
	s_load_b64 s[2:3], s[0:1], 0x20
	s_load_b32 s4, s[0:1], 0x18
	v_sub_nc_u64_e32 v[0:1], v[0:1], v[4:5]
	s_wait_kmcnt 0x0
	s_delay_alu instid0(VALU_DEP_1) | instskip(NEXT) | instid1(VALU_DEP_1)
	v_lshl_add_u64 v[0:1], v[0:1], 2, s[2:3]
	v_lshl_add_u64 v[0:1], v[2:3], 2, v[0:1]
	v_mov_b32_e32 v2, s4
	global_store_b32 v[0:1], v2, off
.LBB44_5:
	s_endpgm
.LBB44_6:
                                        ; implicit-def: $vgpr2_vgpr3
	s_branch .LBB44_3
	.section	.rodata,"a",@progbits
	.p2align	6, 0x0
	.amdhsa_kernel _ZN9rocsparseL16valset_2d_kernelILj256ElfEEvT0_S1_lT1_PS2_16rocsparse_order_
		.amdhsa_group_segment_fixed_size 0
		.amdhsa_private_segment_fixed_size 0
		.amdhsa_kernarg_size 44
		.amdhsa_user_sgpr_count 2
		.amdhsa_user_sgpr_dispatch_ptr 0
		.amdhsa_user_sgpr_queue_ptr 0
		.amdhsa_user_sgpr_kernarg_segment_ptr 1
		.amdhsa_user_sgpr_dispatch_id 0
		.amdhsa_user_sgpr_kernarg_preload_length 0
		.amdhsa_user_sgpr_kernarg_preload_offset 0
		.amdhsa_user_sgpr_private_segment_size 0
		.amdhsa_wavefront_size32 1
		.amdhsa_uses_dynamic_stack 0
		.amdhsa_enable_private_segment 0
		.amdhsa_system_sgpr_workgroup_id_x 1
		.amdhsa_system_sgpr_workgroup_id_y 0
		.amdhsa_system_sgpr_workgroup_id_z 0
		.amdhsa_system_sgpr_workgroup_info 0
		.amdhsa_system_vgpr_workitem_id 0
		.amdhsa_next_free_vgpr 13
		.amdhsa_next_free_sgpr 22
		.amdhsa_named_barrier_count 0
		.amdhsa_reserve_vcc 1
		.amdhsa_float_round_mode_32 0
		.amdhsa_float_round_mode_16_64 0
		.amdhsa_float_denorm_mode_32 3
		.amdhsa_float_denorm_mode_16_64 3
		.amdhsa_fp16_overflow 0
		.amdhsa_memory_ordered 1
		.amdhsa_forward_progress 1
		.amdhsa_inst_pref_size 8
		.amdhsa_round_robin_scheduling 0
		.amdhsa_exception_fp_ieee_invalid_op 0
		.amdhsa_exception_fp_denorm_src 0
		.amdhsa_exception_fp_ieee_div_zero 0
		.amdhsa_exception_fp_ieee_overflow 0
		.amdhsa_exception_fp_ieee_underflow 0
		.amdhsa_exception_fp_ieee_inexact 0
		.amdhsa_exception_int_div_zero 0
	.end_amdhsa_kernel
	.section	.text._ZN9rocsparseL16valset_2d_kernelILj256ElfEEvT0_S1_lT1_PS2_16rocsparse_order_,"axG",@progbits,_ZN9rocsparseL16valset_2d_kernelILj256ElfEEvT0_S1_lT1_PS2_16rocsparse_order_,comdat
.Lfunc_end44:
	.size	_ZN9rocsparseL16valset_2d_kernelILj256ElfEEvT0_S1_lT1_PS2_16rocsparse_order_, .Lfunc_end44-_ZN9rocsparseL16valset_2d_kernelILj256ElfEEvT0_S1_lT1_PS2_16rocsparse_order_
                                        ; -- End function
	.set _ZN9rocsparseL16valset_2d_kernelILj256ElfEEvT0_S1_lT1_PS2_16rocsparse_order_.num_vgpr, 13
	.set _ZN9rocsparseL16valset_2d_kernelILj256ElfEEvT0_S1_lT1_PS2_16rocsparse_order_.num_agpr, 0
	.set _ZN9rocsparseL16valset_2d_kernelILj256ElfEEvT0_S1_lT1_PS2_16rocsparse_order_.numbered_sgpr, 22
	.set _ZN9rocsparseL16valset_2d_kernelILj256ElfEEvT0_S1_lT1_PS2_16rocsparse_order_.num_named_barrier, 0
	.set _ZN9rocsparseL16valset_2d_kernelILj256ElfEEvT0_S1_lT1_PS2_16rocsparse_order_.private_seg_size, 0
	.set _ZN9rocsparseL16valset_2d_kernelILj256ElfEEvT0_S1_lT1_PS2_16rocsparse_order_.uses_vcc, 1
	.set _ZN9rocsparseL16valset_2d_kernelILj256ElfEEvT0_S1_lT1_PS2_16rocsparse_order_.uses_flat_scratch, 0
	.set _ZN9rocsparseL16valset_2d_kernelILj256ElfEEvT0_S1_lT1_PS2_16rocsparse_order_.has_dyn_sized_stack, 0
	.set _ZN9rocsparseL16valset_2d_kernelILj256ElfEEvT0_S1_lT1_PS2_16rocsparse_order_.has_recursion, 0
	.set _ZN9rocsparseL16valset_2d_kernelILj256ElfEEvT0_S1_lT1_PS2_16rocsparse_order_.has_indirect_call, 0
	.section	.AMDGPU.csdata,"",@progbits
; Kernel info:
; codeLenInByte = 936
; TotalNumSgprs: 24
; NumVgprs: 13
; ScratchSize: 0
; MemoryBound: 0
; FloatMode: 240
; IeeeMode: 1
; LDSByteSize: 0 bytes/workgroup (compile time only)
; SGPRBlocks: 0
; VGPRBlocks: 0
; NumSGPRsForWavesPerEU: 24
; NumVGPRsForWavesPerEU: 13
; NamedBarCnt: 0
; Occupancy: 16
; WaveLimiterHint : 0
; COMPUTE_PGM_RSRC2:SCRATCH_EN: 0
; COMPUTE_PGM_RSRC2:USER_SGPR: 2
; COMPUTE_PGM_RSRC2:TRAP_HANDLER: 0
; COMPUTE_PGM_RSRC2:TGID_X_EN: 1
; COMPUTE_PGM_RSRC2:TGID_Y_EN: 0
; COMPUTE_PGM_RSRC2:TGID_Z_EN: 0
; COMPUTE_PGM_RSRC2:TIDIG_COMP_CNT: 0
	.section	.text._ZN9rocsparseL16valset_2d_kernelILj256EldEEvT0_S1_lT1_PS2_16rocsparse_order_,"axG",@progbits,_ZN9rocsparseL16valset_2d_kernelILj256EldEEvT0_S1_lT1_PS2_16rocsparse_order_,comdat
	.globl	_ZN9rocsparseL16valset_2d_kernelILj256EldEEvT0_S1_lT1_PS2_16rocsparse_order_ ; -- Begin function _ZN9rocsparseL16valset_2d_kernelILj256EldEEvT0_S1_lT1_PS2_16rocsparse_order_
	.p2align	8
	.type	_ZN9rocsparseL16valset_2d_kernelILj256EldEEvT0_S1_lT1_PS2_16rocsparse_order_,@function
_ZN9rocsparseL16valset_2d_kernelILj256EldEEvT0_S1_lT1_PS2_16rocsparse_order_: ; @_ZN9rocsparseL16valset_2d_kernelILj256EldEEvT0_S1_lT1_PS2_16rocsparse_order_
; %bb.0:
	s_load_b256 s[4:11], s[0:1], 0x0
	s_bfe_u32 s2, ttmp6, 0x4000c
	s_and_b32 s3, ttmp6, 15
	s_add_co_i32 s2, s2, 1
	s_getreg_b32 s12, hwreg(HW_REG_IB_STS2, 6, 4)
	s_mul_i32 s2, ttmp9, s2
	v_mov_b32_e32 v1, 0
	s_add_co_i32 s3, s3, s2
	s_cmp_eq_u32 s12, 0
	s_cselect_b32 s2, ttmp9, s3
	s_delay_alu instid0(SALU_CYCLE_1)
	v_lshl_or_b32 v0, s2, 8, v0
	s_wait_kmcnt 0x0
	s_mul_u64 s[2:3], s[6:7], s[4:5]
	s_delay_alu instid0(VALU_DEP_1) | instid1(SALU_CYCLE_1)
	v_cmp_gt_i64_e32 vcc_lo, s[2:3], v[0:1]
	s_and_saveexec_b32 s2, vcc_lo
	s_cbranch_execz .LBB45_5
; %bb.1:
	s_load_b96 s[12:14], s[0:1], 0x20
	s_wait_kmcnt 0x0
	s_cmp_eq_u32 s14, 1
	s_cselect_b32 s3, s5, s7
	s_cselect_b32 s2, s4, s6
	s_delay_alu instid0(SALU_CYCLE_1) | instskip(NEXT) | instid1(SALU_CYCLE_1)
	s_and_b64 s[0:1], s[2:3], 0xffffffff00000000
	s_cmp_lg_u64 s[0:1], 0
	s_cbranch_scc0 .LBB45_6
; %bb.2:
	s_ashr_i32 s4, s3, 31
	v_add_nc_u64_e32 v[2:3], 0, v[0:1]
	s_mov_b32 s5, s4
	v_mov_b32_e32 v5, 0
	s_add_nc_u64 s[0:1], s[2:3], s[4:5]
	s_delay_alu instid0(SALU_CYCLE_1) | instskip(NEXT) | instid1(VALU_DEP_2)
	s_xor_b64 s[6:7], s[0:1], s[4:5]
	v_mov_b32_e32 v4, v2
	s_cvt_f32_u32 s0, s6
	s_cvt_f32_u32 s1, s7
	s_sub_nc_u64 s[16:17], 0, s[6:7]
	s_delay_alu instid0(SALU_CYCLE_2) | instskip(NEXT) | instid1(SALU_CYCLE_3)
	s_fmamk_f32 s0, s1, 0x4f800000, s0
	v_s_rcp_f32 s0, s0
	s_delay_alu instid0(TRANS32_DEP_1) | instskip(NEXT) | instid1(SALU_CYCLE_3)
	s_mul_f32 s0, s0, 0x5f7ffffc
	s_mul_f32 s1, s0, 0x2f800000
	s_delay_alu instid0(SALU_CYCLE_3) | instskip(NEXT) | instid1(SALU_CYCLE_3)
	s_trunc_f32 s1, s1
	s_fmamk_f32 s0, s1, 0xcf800000, s0
	s_cvt_u32_f32 s15, s1
	s_mov_b32 s1, 0
	s_delay_alu instid0(SALU_CYCLE_1) | instskip(NEXT) | instid1(SALU_CYCLE_3)
	s_cvt_u32_f32 s14, s0
	s_mul_u64 s[18:19], s[16:17], s[14:15]
	s_delay_alu instid0(SALU_CYCLE_1)
	s_mul_hi_u32 s21, s14, s19
	s_mul_i32 s20, s14, s19
	s_mul_hi_u32 s0, s14, s18
	s_mul_i32 s22, s15, s18
	s_add_nc_u64 s[20:21], s[0:1], s[20:21]
	s_mul_hi_u32 s5, s15, s18
	s_mul_hi_u32 s23, s15, s19
	s_add_co_u32 s0, s20, s22
	s_add_co_ci_u32 s0, s21, s5
	s_mul_i32 s18, s15, s19
	s_add_co_ci_u32 s19, s23, 0
	s_delay_alu instid0(SALU_CYCLE_1) | instskip(NEXT) | instid1(SALU_CYCLE_1)
	s_add_nc_u64 s[18:19], s[0:1], s[18:19]
	s_add_co_u32 s14, s14, s18
	s_cselect_b32 s0, -1, 0
	s_delay_alu instid0(SALU_CYCLE_1) | instskip(SKIP_1) | instid1(SALU_CYCLE_1)
	s_cmp_lg_u32 s0, 0
	s_add_co_ci_u32 s15, s15, s19
	s_mul_u64 s[16:17], s[16:17], s[14:15]
	s_delay_alu instid0(SALU_CYCLE_1)
	s_mul_hi_u32 s19, s14, s17
	s_mul_i32 s18, s14, s17
	s_mul_hi_u32 s0, s14, s16
	s_mul_i32 s20, s15, s16
	s_add_nc_u64 s[18:19], s[0:1], s[18:19]
	s_mul_hi_u32 s5, s15, s16
	s_mul_hi_u32 s21, s15, s17
	s_add_co_u32 s0, s18, s20
	s_add_co_ci_u32 s0, s19, s5
	s_mul_i32 s16, s15, s17
	s_add_co_ci_u32 s17, s21, 0
	s_delay_alu instid0(SALU_CYCLE_1) | instskip(NEXT) | instid1(SALU_CYCLE_1)
	s_add_nc_u64 s[16:17], s[0:1], s[16:17]
	s_add_co_u32 s14, s14, s16
	s_cselect_b32 s0, -1, 0
	s_delay_alu instid0(SALU_CYCLE_1)
	s_cmp_lg_u32 s0, 0
	s_add_co_ci_u32 s0, s15, s17
	s_mov_b64 s[16:17], 0xffffffff
	v_nop
	v_mul_u64_e32 v[6:7], s[0:1], v[4:5]
	v_mul_hi_u32 v4, v2, s14
	s_and_b64 s[14:15], s[14:15], s[16:17]
	s_delay_alu instid0(VALU_DEP_1) | instskip(SKIP_1) | instid1(VALU_DEP_1)
	v_add_nc_u64_e32 v[6:7], v[4:5], v[6:7]
	v_mov_b32_e32 v4, v3
	v_mul_u64_e32 v[8:9], s[14:15], v[4:5]
	v_mul_u64_e32 v[10:11], s[0:1], v[4:5]
	s_delay_alu instid0(VALU_DEP_2) | instskip(NEXT) | instid1(VALU_DEP_3)
	v_add_co_u32 v4, vcc_lo, v6, v8
	v_add_co_ci_u32_e32 v4, vcc_lo, v7, v9, vcc_lo
	s_delay_alu instid0(VALU_DEP_3) | instskip(NEXT) | instid1(VALU_DEP_1)
	v_add_co_ci_u32_e32 v11, vcc_lo, 0, v11, vcc_lo
	v_add_nc_u64_e32 v[4:5], v[4:5], v[10:11]
	s_delay_alu instid0(VALU_DEP_1) | instskip(NEXT) | instid1(VALU_DEP_1)
	v_mul_u64_e32 v[6:7], s[6:7], v[4:5]
	v_sub_nc_u32_e32 v8, v3, v7
	s_delay_alu instid0(VALU_DEP_2) | instskip(NEXT) | instid1(VALU_DEP_1)
	v_sub_co_u32 v2, vcc_lo, v2, v6
	v_sub_co_ci_u32_e64 v7, null, v3, v7, vcc_lo
	s_delay_alu instid0(VALU_DEP_3) | instskip(NEXT) | instid1(VALU_DEP_3)
	v_subrev_co_ci_u32_e64 v6, null, s7, v8, vcc_lo
	v_sub_co_u32 v10, s0, v2, s6
	v_cmp_le_u32_e32 vcc_lo, s6, v2
	s_delay_alu instid0(VALU_DEP_3) | instskip(NEXT) | instid1(VALU_DEP_3)
	v_subrev_co_ci_u32_e64 v6, null, 0, v6, s0
	v_cmp_le_u32_e64 s0, s6, v10
	v_add_nc_u64_e32 v[8:9], 2, v[4:5]
	v_cndmask_b32_e64 v12, 0, -1, vcc_lo
	s_delay_alu instid0(VALU_DEP_4) | instskip(SKIP_3) | instid1(VALU_DEP_1)
	v_cmp_eq_u32_e32 vcc_lo, s7, v6
	v_add_nc_u64_e32 v[2:3], 1, v[4:5]
	v_cndmask_b32_e64 v10, 0, -1, s0
	v_cmp_le_u32_e64 s0, s7, v6
	v_cndmask_b32_e64 v11, 0, -1, s0
	v_cmp_eq_u32_e64 s0, s7, v7
	s_delay_alu instid0(VALU_DEP_2) | instskip(SKIP_2) | instid1(VALU_DEP_3)
	v_cndmask_b32_e32 v6, v11, v10, vcc_lo
	v_cmp_le_u32_e32 vcc_lo, s7, v7
	v_cndmask_b32_e64 v10, 0, -1, vcc_lo
	v_cmp_ne_u32_e32 vcc_lo, 0, v6
	s_delay_alu instid0(VALU_DEP_2) | instskip(SKIP_1) | instid1(VALU_DEP_2)
	v_dual_cndmask_b32 v6, v10, v12, s0 :: v_dual_cndmask_b32 v3, v3, v9, vcc_lo
	v_cndmask_b32_e32 v2, v2, v8, vcc_lo
	v_cmp_ne_u32_e32 vcc_lo, 0, v6
	s_delay_alu instid0(VALU_DEP_2) | instskip(SKIP_1) | instid1(VALU_DEP_2)
	v_dual_cndmask_b32 v5, v5, v3 :: v_dual_cndmask_b32 v4, v4, v2
	v_dual_mov_b32 v3, s4 :: v_dual_mov_b32 v2, s4
	v_xor_b32_e32 v5, s4, v5
	s_delay_alu instid0(VALU_DEP_3) | instskip(NEXT) | instid1(VALU_DEP_1)
	v_xor_b32_e32 v4, s4, v4
	v_sub_nc_u64_e32 v[2:3], v[4:5], v[2:3]
	s_cbranch_execnz .LBB45_4
.LBB45_3:
	v_cvt_f32_u32_e32 v2, s2
	s_sub_co_i32 s0, 0, s2
	s_delay_alu instid0(VALU_DEP_1) | instskip(SKIP_1) | instid1(TRANS32_DEP_1)
	v_rcp_iflag_f32_e32 v2, v2
	v_nop
	v_mul_f32_e32 v2, 0x4f7ffffe, v2
	s_delay_alu instid0(VALU_DEP_1) | instskip(NEXT) | instid1(VALU_DEP_1)
	v_cvt_u32_f32_e32 v2, v2
	v_mul_lo_u32 v3, s0, v2
	s_delay_alu instid0(VALU_DEP_1) | instskip(NEXT) | instid1(VALU_DEP_1)
	v_mul_hi_u32 v3, v2, v3
	v_add_nc_u32_e32 v2, v2, v3
	s_delay_alu instid0(VALU_DEP_1) | instskip(NEXT) | instid1(VALU_DEP_1)
	v_mul_hi_u32 v2, v0, v2
	v_mul_lo_u32 v3, v2, s2
	s_delay_alu instid0(VALU_DEP_1) | instskip(NEXT) | instid1(VALU_DEP_1)
	v_dual_add_nc_u32 v4, 1, v2 :: v_dual_sub_nc_u32 v3, v0, v3
	v_subrev_nc_u32_e32 v5, s2, v3
	v_cmp_le_u32_e32 vcc_lo, s2, v3
	s_delay_alu instid0(VALU_DEP_2) | instskip(NEXT) | instid1(VALU_DEP_1)
	v_dual_cndmask_b32 v3, v3, v5 :: v_dual_cndmask_b32 v2, v2, v4
	v_cmp_le_u32_e32 vcc_lo, s2, v3
	s_delay_alu instid0(VALU_DEP_2) | instskip(NEXT) | instid1(VALU_DEP_1)
	v_dual_mov_b32 v3, 0 :: v_dual_add_nc_u32 v4, 1, v2
	v_cndmask_b32_e32 v2, v2, v4, vcc_lo
.LBB45_4:
	s_delay_alu instid0(VALU_DEP_1) | instskip(SKIP_1) | instid1(VALU_DEP_2)
	v_mul_u64_e32 v[4:5], s[2:3], v[2:3]
	v_mul_u64_e32 v[2:3], s[8:9], v[2:3]
	v_sub_nc_u64_e32 v[0:1], v[0:1], v[4:5]
	v_dual_mov_b32 v4, s10 :: v_dual_mov_b32 v5, s11
	s_delay_alu instid0(VALU_DEP_2) | instskip(NEXT) | instid1(VALU_DEP_1)
	v_lshl_add_u64 v[0:1], v[0:1], 3, s[12:13]
	v_lshl_add_u64 v[0:1], v[2:3], 3, v[0:1]
	global_store_b64 v[0:1], v[4:5], off
.LBB45_5:
	s_endpgm
.LBB45_6:
                                        ; implicit-def: $vgpr2_vgpr3
	s_branch .LBB45_3
	.section	.rodata,"a",@progbits
	.p2align	6, 0x0
	.amdhsa_kernel _ZN9rocsparseL16valset_2d_kernelILj256EldEEvT0_S1_lT1_PS2_16rocsparse_order_
		.amdhsa_group_segment_fixed_size 0
		.amdhsa_private_segment_fixed_size 0
		.amdhsa_kernarg_size 44
		.amdhsa_user_sgpr_count 2
		.amdhsa_user_sgpr_dispatch_ptr 0
		.amdhsa_user_sgpr_queue_ptr 0
		.amdhsa_user_sgpr_kernarg_segment_ptr 1
		.amdhsa_user_sgpr_dispatch_id 0
		.amdhsa_user_sgpr_kernarg_preload_length 0
		.amdhsa_user_sgpr_kernarg_preload_offset 0
		.amdhsa_user_sgpr_private_segment_size 0
		.amdhsa_wavefront_size32 1
		.amdhsa_uses_dynamic_stack 0
		.amdhsa_enable_private_segment 0
		.amdhsa_system_sgpr_workgroup_id_x 1
		.amdhsa_system_sgpr_workgroup_id_y 0
		.amdhsa_system_sgpr_workgroup_id_z 0
		.amdhsa_system_sgpr_workgroup_info 0
		.amdhsa_system_vgpr_workitem_id 0
		.amdhsa_next_free_vgpr 13
		.amdhsa_next_free_sgpr 24
		.amdhsa_named_barrier_count 0
		.amdhsa_reserve_vcc 1
		.amdhsa_float_round_mode_32 0
		.amdhsa_float_round_mode_16_64 0
		.amdhsa_float_denorm_mode_32 3
		.amdhsa_float_denorm_mode_16_64 3
		.amdhsa_fp16_overflow 0
		.amdhsa_memory_ordered 1
		.amdhsa_forward_progress 1
		.amdhsa_inst_pref_size 8
		.amdhsa_round_robin_scheduling 0
		.amdhsa_exception_fp_ieee_invalid_op 0
		.amdhsa_exception_fp_denorm_src 0
		.amdhsa_exception_fp_ieee_div_zero 0
		.amdhsa_exception_fp_ieee_overflow 0
		.amdhsa_exception_fp_ieee_underflow 0
		.amdhsa_exception_fp_ieee_inexact 0
		.amdhsa_exception_int_div_zero 0
	.end_amdhsa_kernel
	.section	.text._ZN9rocsparseL16valset_2d_kernelILj256EldEEvT0_S1_lT1_PS2_16rocsparse_order_,"axG",@progbits,_ZN9rocsparseL16valset_2d_kernelILj256EldEEvT0_S1_lT1_PS2_16rocsparse_order_,comdat
.Lfunc_end45:
	.size	_ZN9rocsparseL16valset_2d_kernelILj256EldEEvT0_S1_lT1_PS2_16rocsparse_order_, .Lfunc_end45-_ZN9rocsparseL16valset_2d_kernelILj256EldEEvT0_S1_lT1_PS2_16rocsparse_order_
                                        ; -- End function
	.set _ZN9rocsparseL16valset_2d_kernelILj256EldEEvT0_S1_lT1_PS2_16rocsparse_order_.num_vgpr, 13
	.set _ZN9rocsparseL16valset_2d_kernelILj256EldEEvT0_S1_lT1_PS2_16rocsparse_order_.num_agpr, 0
	.set _ZN9rocsparseL16valset_2d_kernelILj256EldEEvT0_S1_lT1_PS2_16rocsparse_order_.numbered_sgpr, 24
	.set _ZN9rocsparseL16valset_2d_kernelILj256EldEEvT0_S1_lT1_PS2_16rocsparse_order_.num_named_barrier, 0
	.set _ZN9rocsparseL16valset_2d_kernelILj256EldEEvT0_S1_lT1_PS2_16rocsparse_order_.private_seg_size, 0
	.set _ZN9rocsparseL16valset_2d_kernelILj256EldEEvT0_S1_lT1_PS2_16rocsparse_order_.uses_vcc, 1
	.set _ZN9rocsparseL16valset_2d_kernelILj256EldEEvT0_S1_lT1_PS2_16rocsparse_order_.uses_flat_scratch, 0
	.set _ZN9rocsparseL16valset_2d_kernelILj256EldEEvT0_S1_lT1_PS2_16rocsparse_order_.has_dyn_sized_stack, 0
	.set _ZN9rocsparseL16valset_2d_kernelILj256EldEEvT0_S1_lT1_PS2_16rocsparse_order_.has_recursion, 0
	.set _ZN9rocsparseL16valset_2d_kernelILj256EldEEvT0_S1_lT1_PS2_16rocsparse_order_.has_indirect_call, 0
	.section	.AMDGPU.csdata,"",@progbits
; Kernel info:
; codeLenInByte = 904
; TotalNumSgprs: 26
; NumVgprs: 13
; ScratchSize: 0
; MemoryBound: 0
; FloatMode: 240
; IeeeMode: 1
; LDSByteSize: 0 bytes/workgroup (compile time only)
; SGPRBlocks: 0
; VGPRBlocks: 0
; NumSGPRsForWavesPerEU: 26
; NumVGPRsForWavesPerEU: 13
; NamedBarCnt: 0
; Occupancy: 16
; WaveLimiterHint : 0
; COMPUTE_PGM_RSRC2:SCRATCH_EN: 0
; COMPUTE_PGM_RSRC2:USER_SGPR: 2
; COMPUTE_PGM_RSRC2:TRAP_HANDLER: 0
; COMPUTE_PGM_RSRC2:TGID_X_EN: 1
; COMPUTE_PGM_RSRC2:TGID_Y_EN: 0
; COMPUTE_PGM_RSRC2:TGID_Z_EN: 0
; COMPUTE_PGM_RSRC2:TIDIG_COMP_CNT: 0
	.section	.text._ZN9rocsparseL16valset_2d_kernelILj256El21rocsparse_complex_numIfEEEvT0_S3_lT1_PS4_16rocsparse_order_,"axG",@progbits,_ZN9rocsparseL16valset_2d_kernelILj256El21rocsparse_complex_numIfEEEvT0_S3_lT1_PS4_16rocsparse_order_,comdat
	.globl	_ZN9rocsparseL16valset_2d_kernelILj256El21rocsparse_complex_numIfEEEvT0_S3_lT1_PS4_16rocsparse_order_ ; -- Begin function _ZN9rocsparseL16valset_2d_kernelILj256El21rocsparse_complex_numIfEEEvT0_S3_lT1_PS4_16rocsparse_order_
	.p2align	8
	.type	_ZN9rocsparseL16valset_2d_kernelILj256El21rocsparse_complex_numIfEEEvT0_S3_lT1_PS4_16rocsparse_order_,@function
_ZN9rocsparseL16valset_2d_kernelILj256El21rocsparse_complex_numIfEEEvT0_S3_lT1_PS4_16rocsparse_order_: ; @_ZN9rocsparseL16valset_2d_kernelILj256El21rocsparse_complex_numIfEEEvT0_S3_lT1_PS4_16rocsparse_order_
; %bb.0:
	s_load_b128 s[4:7], s[0:1], 0x0
	s_bfe_u32 s2, ttmp6, 0x4000c
	s_and_b32 s3, ttmp6, 15
	s_add_co_i32 s2, s2, 1
	s_getreg_b32 s8, hwreg(HW_REG_IB_STS2, 6, 4)
	s_mul_i32 s2, ttmp9, s2
	v_mov_b32_e32 v1, 0
	s_add_co_i32 s3, s3, s2
	s_cmp_eq_u32 s8, 0
	s_cselect_b32 s2, ttmp9, s3
	s_delay_alu instid0(SALU_CYCLE_1)
	v_lshl_or_b32 v0, s2, 8, v0
	s_wait_kmcnt 0x0
	s_mul_u64 s[2:3], s[6:7], s[4:5]
	s_delay_alu instid0(VALU_DEP_1) | instid1(SALU_CYCLE_1)
	v_cmp_gt_i64_e32 vcc_lo, s[2:3], v[0:1]
	s_and_saveexec_b32 s2, vcc_lo
	s_cbranch_execz .LBB46_5
; %bb.1:
	s_clause 0x1
	s_load_b32 s2, s[0:1], 0x28
	s_load_b64 s[8:9], s[0:1], 0x10
	s_wait_kmcnt 0x0
	s_cmp_eq_u32 s2, 1
	s_cselect_b32 s5, s5, s7
	s_cselect_b32 s4, s4, s6
	s_delay_alu instid0(SALU_CYCLE_1) | instskip(NEXT) | instid1(SALU_CYCLE_1)
	s_and_b64 s[2:3], s[4:5], 0xffffffff00000000
	s_cmp_lg_u64 s[2:3], 0
	s_cbranch_scc0 .LBB46_6
; %bb.2:
	s_ashr_i32 s6, s5, 31
	v_add_nc_u64_e32 v[2:3], 0, v[0:1]
	s_mov_b32 s7, s6
	v_mov_b32_e32 v5, 0
	s_add_nc_u64 s[2:3], s[4:5], s[6:7]
	s_delay_alu instid0(SALU_CYCLE_1) | instskip(NEXT) | instid1(VALU_DEP_2)
	s_xor_b64 s[10:11], s[2:3], s[6:7]
	v_mov_b32_e32 v4, v2
	s_cvt_f32_u32 s2, s10
	s_cvt_f32_u32 s3, s11
	s_sub_nc_u64 s[14:15], 0, s[10:11]
	s_delay_alu instid0(SALU_CYCLE_2) | instskip(NEXT) | instid1(SALU_CYCLE_3)
	s_fmamk_f32 s2, s3, 0x4f800000, s2
	v_s_rcp_f32 s2, s2
	s_delay_alu instid0(TRANS32_DEP_1) | instskip(NEXT) | instid1(SALU_CYCLE_3)
	s_mul_f32 s2, s2, 0x5f7ffffc
	s_mul_f32 s3, s2, 0x2f800000
	s_delay_alu instid0(SALU_CYCLE_3) | instskip(NEXT) | instid1(SALU_CYCLE_3)
	s_trunc_f32 s3, s3
	s_fmamk_f32 s2, s3, 0xcf800000, s2
	s_cvt_u32_f32 s13, s3
	s_mov_b32 s3, 0
	s_delay_alu instid0(SALU_CYCLE_1) | instskip(NEXT) | instid1(SALU_CYCLE_3)
	s_cvt_u32_f32 s12, s2
	s_mul_u64 s[16:17], s[14:15], s[12:13]
	s_delay_alu instid0(SALU_CYCLE_1)
	s_mul_hi_u32 s19, s12, s17
	s_mul_i32 s18, s12, s17
	s_mul_hi_u32 s2, s12, s16
	s_mul_i32 s20, s13, s16
	s_add_nc_u64 s[18:19], s[2:3], s[18:19]
	s_mul_hi_u32 s7, s13, s16
	s_mul_hi_u32 s21, s13, s17
	s_add_co_u32 s2, s18, s20
	s_add_co_ci_u32 s2, s19, s7
	s_mul_i32 s16, s13, s17
	s_add_co_ci_u32 s17, s21, 0
	s_delay_alu instid0(SALU_CYCLE_1) | instskip(NEXT) | instid1(SALU_CYCLE_1)
	s_add_nc_u64 s[16:17], s[2:3], s[16:17]
	s_add_co_u32 s12, s12, s16
	s_cselect_b32 s2, -1, 0
	s_delay_alu instid0(SALU_CYCLE_1) | instskip(SKIP_1) | instid1(SALU_CYCLE_1)
	s_cmp_lg_u32 s2, 0
	s_add_co_ci_u32 s13, s13, s17
	s_mul_u64 s[14:15], s[14:15], s[12:13]
	s_delay_alu instid0(SALU_CYCLE_1)
	s_mul_hi_u32 s17, s12, s15
	s_mul_i32 s16, s12, s15
	s_mul_hi_u32 s2, s12, s14
	s_mul_i32 s18, s13, s14
	s_add_nc_u64 s[16:17], s[2:3], s[16:17]
	s_mul_hi_u32 s7, s13, s14
	s_mul_hi_u32 s19, s13, s15
	s_add_co_u32 s2, s16, s18
	s_add_co_ci_u32 s2, s17, s7
	s_mul_i32 s14, s13, s15
	s_add_co_ci_u32 s15, s19, 0
	s_delay_alu instid0(SALU_CYCLE_1) | instskip(NEXT) | instid1(SALU_CYCLE_1)
	s_add_nc_u64 s[14:15], s[2:3], s[14:15]
	s_add_co_u32 s12, s12, s14
	s_cselect_b32 s2, -1, 0
	s_delay_alu instid0(SALU_CYCLE_1)
	s_cmp_lg_u32 s2, 0
	s_add_co_ci_u32 s2, s13, s15
	s_mov_b64 s[14:15], 0xffffffff
	v_nop
	v_mul_u64_e32 v[6:7], s[2:3], v[4:5]
	v_mul_hi_u32 v4, v2, s12
	s_and_b64 s[12:13], s[12:13], s[14:15]
	s_delay_alu instid0(VALU_DEP_1) | instskip(SKIP_1) | instid1(VALU_DEP_1)
	v_add_nc_u64_e32 v[6:7], v[4:5], v[6:7]
	v_mov_b32_e32 v4, v3
	v_mul_u64_e32 v[8:9], s[12:13], v[4:5]
	v_mul_u64_e32 v[10:11], s[2:3], v[4:5]
	s_delay_alu instid0(VALU_DEP_2) | instskip(NEXT) | instid1(VALU_DEP_3)
	v_add_co_u32 v4, vcc_lo, v6, v8
	v_add_co_ci_u32_e32 v4, vcc_lo, v7, v9, vcc_lo
	s_delay_alu instid0(VALU_DEP_3) | instskip(NEXT) | instid1(VALU_DEP_1)
	v_add_co_ci_u32_e32 v11, vcc_lo, 0, v11, vcc_lo
	v_add_nc_u64_e32 v[4:5], v[4:5], v[10:11]
	s_delay_alu instid0(VALU_DEP_1) | instskip(NEXT) | instid1(VALU_DEP_1)
	v_mul_u64_e32 v[6:7], s[10:11], v[4:5]
	v_sub_nc_u32_e32 v8, v3, v7
	s_delay_alu instid0(VALU_DEP_2) | instskip(NEXT) | instid1(VALU_DEP_1)
	v_sub_co_u32 v2, vcc_lo, v2, v6
	v_sub_co_ci_u32_e64 v7, null, v3, v7, vcc_lo
	s_delay_alu instid0(VALU_DEP_3) | instskip(NEXT) | instid1(VALU_DEP_3)
	v_subrev_co_ci_u32_e64 v6, null, s11, v8, vcc_lo
	v_sub_co_u32 v10, s2, v2, s10
	v_cmp_le_u32_e32 vcc_lo, s10, v2
	s_delay_alu instid0(VALU_DEP_3) | instskip(NEXT) | instid1(VALU_DEP_3)
	v_subrev_co_ci_u32_e64 v6, null, 0, v6, s2
	v_cmp_le_u32_e64 s2, s10, v10
	v_add_nc_u64_e32 v[8:9], 2, v[4:5]
	v_cndmask_b32_e64 v12, 0, -1, vcc_lo
	s_delay_alu instid0(VALU_DEP_4) | instskip(SKIP_3) | instid1(VALU_DEP_1)
	v_cmp_eq_u32_e32 vcc_lo, s11, v6
	v_add_nc_u64_e32 v[2:3], 1, v[4:5]
	v_cndmask_b32_e64 v10, 0, -1, s2
	v_cmp_le_u32_e64 s2, s11, v6
	v_cndmask_b32_e64 v11, 0, -1, s2
	v_cmp_eq_u32_e64 s2, s11, v7
	s_delay_alu instid0(VALU_DEP_2) | instskip(SKIP_2) | instid1(VALU_DEP_3)
	v_cndmask_b32_e32 v6, v11, v10, vcc_lo
	v_cmp_le_u32_e32 vcc_lo, s11, v7
	v_cndmask_b32_e64 v10, 0, -1, vcc_lo
	v_cmp_ne_u32_e32 vcc_lo, 0, v6
	s_delay_alu instid0(VALU_DEP_2) | instskip(SKIP_1) | instid1(VALU_DEP_2)
	v_dual_cndmask_b32 v6, v10, v12, s2 :: v_dual_cndmask_b32 v3, v3, v9, vcc_lo
	v_cndmask_b32_e32 v2, v2, v8, vcc_lo
	v_cmp_ne_u32_e32 vcc_lo, 0, v6
	s_delay_alu instid0(VALU_DEP_2) | instskip(SKIP_1) | instid1(VALU_DEP_2)
	v_dual_cndmask_b32 v5, v5, v3 :: v_dual_cndmask_b32 v4, v4, v2
	v_dual_mov_b32 v3, s6 :: v_dual_mov_b32 v2, s6
	v_xor_b32_e32 v5, s6, v5
	s_delay_alu instid0(VALU_DEP_3) | instskip(NEXT) | instid1(VALU_DEP_1)
	v_xor_b32_e32 v4, s6, v4
	v_sub_nc_u64_e32 v[2:3], v[4:5], v[2:3]
	s_cbranch_execnz .LBB46_4
.LBB46_3:
	v_cvt_f32_u32_e32 v2, s4
	s_sub_co_i32 s2, 0, s4
	s_delay_alu instid0(VALU_DEP_1) | instskip(SKIP_1) | instid1(TRANS32_DEP_1)
	v_rcp_iflag_f32_e32 v2, v2
	v_nop
	v_mul_f32_e32 v2, 0x4f7ffffe, v2
	s_delay_alu instid0(VALU_DEP_1) | instskip(NEXT) | instid1(VALU_DEP_1)
	v_cvt_u32_f32_e32 v2, v2
	v_mul_lo_u32 v3, s2, v2
	s_delay_alu instid0(VALU_DEP_1) | instskip(NEXT) | instid1(VALU_DEP_1)
	v_mul_hi_u32 v3, v2, v3
	v_add_nc_u32_e32 v2, v2, v3
	s_delay_alu instid0(VALU_DEP_1) | instskip(NEXT) | instid1(VALU_DEP_1)
	v_mul_hi_u32 v2, v0, v2
	v_mul_lo_u32 v3, v2, s4
	s_delay_alu instid0(VALU_DEP_1) | instskip(NEXT) | instid1(VALU_DEP_1)
	v_dual_add_nc_u32 v4, 1, v2 :: v_dual_sub_nc_u32 v3, v0, v3
	v_subrev_nc_u32_e32 v5, s4, v3
	v_cmp_le_u32_e32 vcc_lo, s4, v3
	s_delay_alu instid0(VALU_DEP_2) | instskip(NEXT) | instid1(VALU_DEP_1)
	v_dual_cndmask_b32 v3, v3, v5 :: v_dual_cndmask_b32 v2, v2, v4
	v_cmp_le_u32_e32 vcc_lo, s4, v3
	s_delay_alu instid0(VALU_DEP_2) | instskip(NEXT) | instid1(VALU_DEP_1)
	v_dual_mov_b32 v3, 0 :: v_dual_add_nc_u32 v4, 1, v2
	v_cndmask_b32_e32 v2, v2, v4, vcc_lo
.LBB46_4:
	s_delay_alu instid0(VALU_DEP_1) | instskip(SKIP_2) | instid1(VALU_DEP_2)
	v_mul_u64_e32 v[4:5], s[4:5], v[2:3]
	v_mul_u64_e32 v[2:3], s[8:9], v[2:3]
	s_load_b128 s[4:7], s[0:1], 0x18
	v_sub_nc_u64_e32 v[0:1], v[0:1], v[4:5]
	s_wait_kmcnt 0x0
	s_delay_alu instid0(VALU_DEP_1) | instskip(NEXT) | instid1(VALU_DEP_1)
	v_lshl_add_u64 v[0:1], v[0:1], 3, s[6:7]
	v_lshl_add_u64 v[0:1], v[2:3], 3, v[0:1]
	v_mov_b64_e32 v[2:3], s[4:5]
	global_store_b64 v[0:1], v[2:3], off
.LBB46_5:
	s_endpgm
.LBB46_6:
                                        ; implicit-def: $vgpr2_vgpr3
	s_branch .LBB46_3
	.section	.rodata,"a",@progbits
	.p2align	6, 0x0
	.amdhsa_kernel _ZN9rocsparseL16valset_2d_kernelILj256El21rocsparse_complex_numIfEEEvT0_S3_lT1_PS4_16rocsparse_order_
		.amdhsa_group_segment_fixed_size 0
		.amdhsa_private_segment_fixed_size 0
		.amdhsa_kernarg_size 44
		.amdhsa_user_sgpr_count 2
		.amdhsa_user_sgpr_dispatch_ptr 0
		.amdhsa_user_sgpr_queue_ptr 0
		.amdhsa_user_sgpr_kernarg_segment_ptr 1
		.amdhsa_user_sgpr_dispatch_id 0
		.amdhsa_user_sgpr_kernarg_preload_length 0
		.amdhsa_user_sgpr_kernarg_preload_offset 0
		.amdhsa_user_sgpr_private_segment_size 0
		.amdhsa_wavefront_size32 1
		.amdhsa_uses_dynamic_stack 0
		.amdhsa_enable_private_segment 0
		.amdhsa_system_sgpr_workgroup_id_x 1
		.amdhsa_system_sgpr_workgroup_id_y 0
		.amdhsa_system_sgpr_workgroup_id_z 0
		.amdhsa_system_sgpr_workgroup_info 0
		.amdhsa_system_vgpr_workitem_id 0
		.amdhsa_next_free_vgpr 13
		.amdhsa_next_free_sgpr 22
		.amdhsa_named_barrier_count 0
		.amdhsa_reserve_vcc 1
		.amdhsa_float_round_mode_32 0
		.amdhsa_float_round_mode_16_64 0
		.amdhsa_float_denorm_mode_32 3
		.amdhsa_float_denorm_mode_16_64 3
		.amdhsa_fp16_overflow 0
		.amdhsa_memory_ordered 1
		.amdhsa_forward_progress 1
		.amdhsa_inst_pref_size 8
		.amdhsa_round_robin_scheduling 0
		.amdhsa_exception_fp_ieee_invalid_op 0
		.amdhsa_exception_fp_denorm_src 0
		.amdhsa_exception_fp_ieee_div_zero 0
		.amdhsa_exception_fp_ieee_overflow 0
		.amdhsa_exception_fp_ieee_underflow 0
		.amdhsa_exception_fp_ieee_inexact 0
		.amdhsa_exception_int_div_zero 0
	.end_amdhsa_kernel
	.section	.text._ZN9rocsparseL16valset_2d_kernelILj256El21rocsparse_complex_numIfEEEvT0_S3_lT1_PS4_16rocsparse_order_,"axG",@progbits,_ZN9rocsparseL16valset_2d_kernelILj256El21rocsparse_complex_numIfEEEvT0_S3_lT1_PS4_16rocsparse_order_,comdat
.Lfunc_end46:
	.size	_ZN9rocsparseL16valset_2d_kernelILj256El21rocsparse_complex_numIfEEEvT0_S3_lT1_PS4_16rocsparse_order_, .Lfunc_end46-_ZN9rocsparseL16valset_2d_kernelILj256El21rocsparse_complex_numIfEEEvT0_S3_lT1_PS4_16rocsparse_order_
                                        ; -- End function
	.set _ZN9rocsparseL16valset_2d_kernelILj256El21rocsparse_complex_numIfEEEvT0_S3_lT1_PS4_16rocsparse_order_.num_vgpr, 13
	.set _ZN9rocsparseL16valset_2d_kernelILj256El21rocsparse_complex_numIfEEEvT0_S3_lT1_PS4_16rocsparse_order_.num_agpr, 0
	.set _ZN9rocsparseL16valset_2d_kernelILj256El21rocsparse_complex_numIfEEEvT0_S3_lT1_PS4_16rocsparse_order_.numbered_sgpr, 22
	.set _ZN9rocsparseL16valset_2d_kernelILj256El21rocsparse_complex_numIfEEEvT0_S3_lT1_PS4_16rocsparse_order_.num_named_barrier, 0
	.set _ZN9rocsparseL16valset_2d_kernelILj256El21rocsparse_complex_numIfEEEvT0_S3_lT1_PS4_16rocsparse_order_.private_seg_size, 0
	.set _ZN9rocsparseL16valset_2d_kernelILj256El21rocsparse_complex_numIfEEEvT0_S3_lT1_PS4_16rocsparse_order_.uses_vcc, 1
	.set _ZN9rocsparseL16valset_2d_kernelILj256El21rocsparse_complex_numIfEEEvT0_S3_lT1_PS4_16rocsparse_order_.uses_flat_scratch, 0
	.set _ZN9rocsparseL16valset_2d_kernelILj256El21rocsparse_complex_numIfEEEvT0_S3_lT1_PS4_16rocsparse_order_.has_dyn_sized_stack, 0
	.set _ZN9rocsparseL16valset_2d_kernelILj256El21rocsparse_complex_numIfEEEvT0_S3_lT1_PS4_16rocsparse_order_.has_recursion, 0
	.set _ZN9rocsparseL16valset_2d_kernelILj256El21rocsparse_complex_numIfEEEvT0_S3_lT1_PS4_16rocsparse_order_.has_indirect_call, 0
	.section	.AMDGPU.csdata,"",@progbits
; Kernel info:
; codeLenInByte = 924
; TotalNumSgprs: 24
; NumVgprs: 13
; ScratchSize: 0
; MemoryBound: 0
; FloatMode: 240
; IeeeMode: 1
; LDSByteSize: 0 bytes/workgroup (compile time only)
; SGPRBlocks: 0
; VGPRBlocks: 0
; NumSGPRsForWavesPerEU: 24
; NumVGPRsForWavesPerEU: 13
; NamedBarCnt: 0
; Occupancy: 16
; WaveLimiterHint : 0
; COMPUTE_PGM_RSRC2:SCRATCH_EN: 0
; COMPUTE_PGM_RSRC2:USER_SGPR: 2
; COMPUTE_PGM_RSRC2:TRAP_HANDLER: 0
; COMPUTE_PGM_RSRC2:TGID_X_EN: 1
; COMPUTE_PGM_RSRC2:TGID_Y_EN: 0
; COMPUTE_PGM_RSRC2:TGID_Z_EN: 0
; COMPUTE_PGM_RSRC2:TIDIG_COMP_CNT: 0
	.section	.text._ZN9rocsparseL16valset_2d_kernelILj256El21rocsparse_complex_numIdEEEvT0_S3_lT1_PS4_16rocsparse_order_,"axG",@progbits,_ZN9rocsparseL16valset_2d_kernelILj256El21rocsparse_complex_numIdEEEvT0_S3_lT1_PS4_16rocsparse_order_,comdat
	.globl	_ZN9rocsparseL16valset_2d_kernelILj256El21rocsparse_complex_numIdEEEvT0_S3_lT1_PS4_16rocsparse_order_ ; -- Begin function _ZN9rocsparseL16valset_2d_kernelILj256El21rocsparse_complex_numIdEEEvT0_S3_lT1_PS4_16rocsparse_order_
	.p2align	8
	.type	_ZN9rocsparseL16valset_2d_kernelILj256El21rocsparse_complex_numIdEEEvT0_S3_lT1_PS4_16rocsparse_order_,@function
_ZN9rocsparseL16valset_2d_kernelILj256El21rocsparse_complex_numIdEEEvT0_S3_lT1_PS4_16rocsparse_order_: ; @_ZN9rocsparseL16valset_2d_kernelILj256El21rocsparse_complex_numIdEEEvT0_S3_lT1_PS4_16rocsparse_order_
; %bb.0:
	s_load_b128 s[4:7], s[0:1], 0x0
	s_bfe_u32 s2, ttmp6, 0x4000c
	s_and_b32 s3, ttmp6, 15
	s_add_co_i32 s2, s2, 1
	s_getreg_b32 s8, hwreg(HW_REG_IB_STS2, 6, 4)
	s_mul_i32 s2, ttmp9, s2
	v_mov_b32_e32 v1, 0
	s_add_co_i32 s3, s3, s2
	s_cmp_eq_u32 s8, 0
	s_cselect_b32 s2, ttmp9, s3
	s_delay_alu instid0(SALU_CYCLE_1)
	v_lshl_or_b32 v0, s2, 8, v0
	s_wait_kmcnt 0x0
	s_mul_u64 s[2:3], s[6:7], s[4:5]
	s_delay_alu instid0(VALU_DEP_1) | instid1(SALU_CYCLE_1)
	v_cmp_gt_i64_e32 vcc_lo, s[2:3], v[0:1]
	s_and_saveexec_b32 s2, vcc_lo
	s_cbranch_execz .LBB47_5
; %bb.1:
	s_clause 0x1
	s_load_b32 s2, s[0:1], 0x30
	s_load_b64 s[8:9], s[0:1], 0x10
	s_wait_kmcnt 0x0
	s_cmp_eq_u32 s2, 1
	s_cselect_b32 s11, s5, s7
	s_cselect_b32 s10, s4, s6
	s_delay_alu instid0(SALU_CYCLE_1) | instskip(NEXT) | instid1(SALU_CYCLE_1)
	s_and_b64 s[2:3], s[10:11], 0xffffffff00000000
	s_cmp_lg_u64 s[2:3], 0
	s_cbranch_scc0 .LBB47_6
; %bb.2:
	s_ashr_i32 s4, s11, 31
	v_add_nc_u64_e32 v[2:3], 0, v[0:1]
	s_mov_b32 s5, s4
	v_mov_b32_e32 v5, 0
	s_add_nc_u64 s[2:3], s[10:11], s[4:5]
	s_delay_alu instid0(SALU_CYCLE_1) | instskip(NEXT) | instid1(VALU_DEP_2)
	s_xor_b64 s[6:7], s[2:3], s[4:5]
	v_mov_b32_e32 v4, v2
	s_cvt_f32_u32 s2, s6
	s_cvt_f32_u32 s3, s7
	s_sub_nc_u64 s[14:15], 0, s[6:7]
	s_delay_alu instid0(SALU_CYCLE_2) | instskip(NEXT) | instid1(SALU_CYCLE_3)
	s_fmamk_f32 s2, s3, 0x4f800000, s2
	v_s_rcp_f32 s2, s2
	s_delay_alu instid0(TRANS32_DEP_1) | instskip(NEXT) | instid1(SALU_CYCLE_3)
	s_mul_f32 s2, s2, 0x5f7ffffc
	s_mul_f32 s3, s2, 0x2f800000
	s_delay_alu instid0(SALU_CYCLE_3) | instskip(NEXT) | instid1(SALU_CYCLE_3)
	s_trunc_f32 s3, s3
	s_fmamk_f32 s2, s3, 0xcf800000, s2
	s_cvt_u32_f32 s13, s3
	s_mov_b32 s3, 0
	s_delay_alu instid0(SALU_CYCLE_1) | instskip(NEXT) | instid1(SALU_CYCLE_3)
	s_cvt_u32_f32 s12, s2
	s_mul_u64 s[16:17], s[14:15], s[12:13]
	s_delay_alu instid0(SALU_CYCLE_1)
	s_mul_hi_u32 s19, s12, s17
	s_mul_i32 s18, s12, s17
	s_mul_hi_u32 s2, s12, s16
	s_mul_i32 s20, s13, s16
	s_add_nc_u64 s[18:19], s[2:3], s[18:19]
	s_mul_hi_u32 s5, s13, s16
	s_mul_hi_u32 s21, s13, s17
	s_add_co_u32 s2, s18, s20
	s_add_co_ci_u32 s2, s19, s5
	s_mul_i32 s16, s13, s17
	s_add_co_ci_u32 s17, s21, 0
	s_delay_alu instid0(SALU_CYCLE_1) | instskip(NEXT) | instid1(SALU_CYCLE_1)
	s_add_nc_u64 s[16:17], s[2:3], s[16:17]
	s_add_co_u32 s12, s12, s16
	s_cselect_b32 s2, -1, 0
	s_delay_alu instid0(SALU_CYCLE_1) | instskip(SKIP_1) | instid1(SALU_CYCLE_1)
	s_cmp_lg_u32 s2, 0
	s_add_co_ci_u32 s13, s13, s17
	s_mul_u64 s[14:15], s[14:15], s[12:13]
	s_delay_alu instid0(SALU_CYCLE_1)
	s_mul_hi_u32 s17, s12, s15
	s_mul_i32 s16, s12, s15
	s_mul_hi_u32 s2, s12, s14
	s_mul_i32 s18, s13, s14
	s_add_nc_u64 s[16:17], s[2:3], s[16:17]
	s_mul_hi_u32 s5, s13, s14
	s_mul_hi_u32 s19, s13, s15
	s_add_co_u32 s2, s16, s18
	s_add_co_ci_u32 s2, s17, s5
	s_mul_i32 s14, s13, s15
	s_add_co_ci_u32 s15, s19, 0
	s_delay_alu instid0(SALU_CYCLE_1) | instskip(NEXT) | instid1(SALU_CYCLE_1)
	s_add_nc_u64 s[14:15], s[2:3], s[14:15]
	s_add_co_u32 s12, s12, s14
	s_cselect_b32 s2, -1, 0
	s_delay_alu instid0(SALU_CYCLE_1)
	s_cmp_lg_u32 s2, 0
	s_add_co_ci_u32 s2, s13, s15
	s_mov_b64 s[14:15], 0xffffffff
	v_nop
	v_mul_u64_e32 v[6:7], s[2:3], v[4:5]
	v_mul_hi_u32 v4, v2, s12
	s_and_b64 s[12:13], s[12:13], s[14:15]
	s_delay_alu instid0(VALU_DEP_1) | instskip(SKIP_1) | instid1(VALU_DEP_1)
	v_add_nc_u64_e32 v[6:7], v[4:5], v[6:7]
	v_mov_b32_e32 v4, v3
	v_mul_u64_e32 v[8:9], s[12:13], v[4:5]
	v_mul_u64_e32 v[10:11], s[2:3], v[4:5]
	s_delay_alu instid0(VALU_DEP_2) | instskip(NEXT) | instid1(VALU_DEP_3)
	v_add_co_u32 v4, vcc_lo, v6, v8
	v_add_co_ci_u32_e32 v4, vcc_lo, v7, v9, vcc_lo
	s_delay_alu instid0(VALU_DEP_3) | instskip(NEXT) | instid1(VALU_DEP_1)
	v_add_co_ci_u32_e32 v11, vcc_lo, 0, v11, vcc_lo
	v_add_nc_u64_e32 v[4:5], v[4:5], v[10:11]
	s_delay_alu instid0(VALU_DEP_1) | instskip(NEXT) | instid1(VALU_DEP_1)
	v_mul_u64_e32 v[6:7], s[6:7], v[4:5]
	v_sub_nc_u32_e32 v8, v3, v7
	s_delay_alu instid0(VALU_DEP_2) | instskip(NEXT) | instid1(VALU_DEP_1)
	v_sub_co_u32 v2, vcc_lo, v2, v6
	v_sub_co_ci_u32_e64 v7, null, v3, v7, vcc_lo
	s_delay_alu instid0(VALU_DEP_3) | instskip(NEXT) | instid1(VALU_DEP_3)
	v_subrev_co_ci_u32_e64 v6, null, s7, v8, vcc_lo
	v_sub_co_u32 v10, s2, v2, s6
	v_cmp_le_u32_e32 vcc_lo, s6, v2
	s_delay_alu instid0(VALU_DEP_3) | instskip(NEXT) | instid1(VALU_DEP_3)
	v_subrev_co_ci_u32_e64 v6, null, 0, v6, s2
	v_cmp_le_u32_e64 s2, s6, v10
	v_add_nc_u64_e32 v[8:9], 2, v[4:5]
	v_cndmask_b32_e64 v12, 0, -1, vcc_lo
	s_delay_alu instid0(VALU_DEP_4) | instskip(SKIP_3) | instid1(VALU_DEP_1)
	v_cmp_eq_u32_e32 vcc_lo, s7, v6
	v_add_nc_u64_e32 v[2:3], 1, v[4:5]
	v_cndmask_b32_e64 v10, 0, -1, s2
	v_cmp_le_u32_e64 s2, s7, v6
	v_cndmask_b32_e64 v11, 0, -1, s2
	v_cmp_eq_u32_e64 s2, s7, v7
	s_delay_alu instid0(VALU_DEP_2) | instskip(SKIP_2) | instid1(VALU_DEP_3)
	v_cndmask_b32_e32 v6, v11, v10, vcc_lo
	v_cmp_le_u32_e32 vcc_lo, s7, v7
	v_cndmask_b32_e64 v10, 0, -1, vcc_lo
	v_cmp_ne_u32_e32 vcc_lo, 0, v6
	s_delay_alu instid0(VALU_DEP_2) | instskip(SKIP_1) | instid1(VALU_DEP_2)
	v_dual_cndmask_b32 v6, v10, v12, s2 :: v_dual_cndmask_b32 v3, v3, v9, vcc_lo
	v_cndmask_b32_e32 v2, v2, v8, vcc_lo
	v_cmp_ne_u32_e32 vcc_lo, 0, v6
	s_delay_alu instid0(VALU_DEP_2) | instskip(SKIP_1) | instid1(VALU_DEP_2)
	v_dual_cndmask_b32 v5, v5, v3 :: v_dual_cndmask_b32 v4, v4, v2
	v_dual_mov_b32 v3, s4 :: v_dual_mov_b32 v2, s4
	v_xor_b32_e32 v5, s4, v5
	s_delay_alu instid0(VALU_DEP_3) | instskip(NEXT) | instid1(VALU_DEP_1)
	v_xor_b32_e32 v4, s4, v4
	v_sub_nc_u64_e32 v[2:3], v[4:5], v[2:3]
	s_load_b128 s[4:7], s[0:1], 0x18
	s_cbranch_execnz .LBB47_4
.LBB47_3:
	v_cvt_f32_u32_e32 v2, s10
	s_sub_co_i32 s2, 0, s10
	s_delay_alu instid0(VALU_DEP_1) | instskip(SKIP_1) | instid1(TRANS32_DEP_1)
	v_rcp_iflag_f32_e32 v2, v2
	v_nop
	v_mul_f32_e32 v2, 0x4f7ffffe, v2
	s_delay_alu instid0(VALU_DEP_1) | instskip(NEXT) | instid1(VALU_DEP_1)
	v_cvt_u32_f32_e32 v2, v2
	v_mul_lo_u32 v3, s2, v2
	s_delay_alu instid0(VALU_DEP_1) | instskip(NEXT) | instid1(VALU_DEP_1)
	v_mul_hi_u32 v3, v2, v3
	v_add_nc_u32_e32 v2, v2, v3
	s_delay_alu instid0(VALU_DEP_1) | instskip(NEXT) | instid1(VALU_DEP_1)
	v_mul_hi_u32 v2, v0, v2
	v_mul_lo_u32 v3, v2, s10
	s_delay_alu instid0(VALU_DEP_1) | instskip(NEXT) | instid1(VALU_DEP_1)
	v_dual_add_nc_u32 v4, 1, v2 :: v_dual_sub_nc_u32 v3, v0, v3
	v_subrev_nc_u32_e32 v5, s10, v3
	v_cmp_le_u32_e32 vcc_lo, s10, v3
	s_delay_alu instid0(VALU_DEP_2) | instskip(NEXT) | instid1(VALU_DEP_1)
	v_dual_cndmask_b32 v3, v3, v5 :: v_dual_cndmask_b32 v2, v2, v4
	v_cmp_le_u32_e32 vcc_lo, s10, v3
	s_delay_alu instid0(VALU_DEP_2) | instskip(NEXT) | instid1(VALU_DEP_1)
	v_dual_mov_b32 v3, 0 :: v_dual_add_nc_u32 v4, 1, v2
	v_cndmask_b32_e32 v2, v2, v4, vcc_lo
.LBB47_4:
	s_delay_alu instid0(VALU_DEP_1) | instskip(SKIP_3) | instid1(VALU_DEP_2)
	v_mul_u64_e32 v[4:5], s[10:11], v[2:3]
	v_mul_u64_e32 v[2:3], s[8:9], v[2:3]
	s_wait_xcnt 0x0
	s_load_b64 s[0:1], s[0:1], 0x28
	v_sub_nc_u64_e32 v[0:1], v[0:1], v[4:5]
	s_wait_kmcnt 0x0
	s_delay_alu instid0(VALU_DEP_1) | instskip(NEXT) | instid1(VALU_DEP_1)
	v_lshl_add_u64 v[0:1], v[0:1], 4, s[0:1]
	v_lshl_add_u64 v[4:5], v[2:3], 4, v[0:1]
	v_mov_b64_e32 v[0:1], s[4:5]
	v_mov_b64_e32 v[2:3], s[6:7]
	global_store_b128 v[4:5], v[0:3], off
.LBB47_5:
	s_endpgm
.LBB47_6:
                                        ; implicit-def: $vgpr2_vgpr3
	s_load_b128 s[4:7], s[0:1], 0x18
	s_branch .LBB47_3
	.section	.rodata,"a",@progbits
	.p2align	6, 0x0
	.amdhsa_kernel _ZN9rocsparseL16valset_2d_kernelILj256El21rocsparse_complex_numIdEEEvT0_S3_lT1_PS4_16rocsparse_order_
		.amdhsa_group_segment_fixed_size 0
		.amdhsa_private_segment_fixed_size 0
		.amdhsa_kernarg_size 52
		.amdhsa_user_sgpr_count 2
		.amdhsa_user_sgpr_dispatch_ptr 0
		.amdhsa_user_sgpr_queue_ptr 0
		.amdhsa_user_sgpr_kernarg_segment_ptr 1
		.amdhsa_user_sgpr_dispatch_id 0
		.amdhsa_user_sgpr_kernarg_preload_length 0
		.amdhsa_user_sgpr_kernarg_preload_offset 0
		.amdhsa_user_sgpr_private_segment_size 0
		.amdhsa_wavefront_size32 1
		.amdhsa_uses_dynamic_stack 0
		.amdhsa_enable_private_segment 0
		.amdhsa_system_sgpr_workgroup_id_x 1
		.amdhsa_system_sgpr_workgroup_id_y 0
		.amdhsa_system_sgpr_workgroup_id_z 0
		.amdhsa_system_sgpr_workgroup_info 0
		.amdhsa_system_vgpr_workitem_id 0
		.amdhsa_next_free_vgpr 13
		.amdhsa_next_free_sgpr 22
		.amdhsa_named_barrier_count 0
		.amdhsa_reserve_vcc 1
		.amdhsa_float_round_mode_32 0
		.amdhsa_float_round_mode_16_64 0
		.amdhsa_float_denorm_mode_32 3
		.amdhsa_float_denorm_mode_16_64 3
		.amdhsa_fp16_overflow 0
		.amdhsa_memory_ordered 1
		.amdhsa_forward_progress 1
		.amdhsa_inst_pref_size 8
		.amdhsa_round_robin_scheduling 0
		.amdhsa_exception_fp_ieee_invalid_op 0
		.amdhsa_exception_fp_denorm_src 0
		.amdhsa_exception_fp_ieee_div_zero 0
		.amdhsa_exception_fp_ieee_overflow 0
		.amdhsa_exception_fp_ieee_underflow 0
		.amdhsa_exception_fp_ieee_inexact 0
		.amdhsa_exception_int_div_zero 0
	.end_amdhsa_kernel
	.section	.text._ZN9rocsparseL16valset_2d_kernelILj256El21rocsparse_complex_numIdEEEvT0_S3_lT1_PS4_16rocsparse_order_,"axG",@progbits,_ZN9rocsparseL16valset_2d_kernelILj256El21rocsparse_complex_numIdEEEvT0_S3_lT1_PS4_16rocsparse_order_,comdat
.Lfunc_end47:
	.size	_ZN9rocsparseL16valset_2d_kernelILj256El21rocsparse_complex_numIdEEEvT0_S3_lT1_PS4_16rocsparse_order_, .Lfunc_end47-_ZN9rocsparseL16valset_2d_kernelILj256El21rocsparse_complex_numIdEEEvT0_S3_lT1_PS4_16rocsparse_order_
                                        ; -- End function
	.set _ZN9rocsparseL16valset_2d_kernelILj256El21rocsparse_complex_numIdEEEvT0_S3_lT1_PS4_16rocsparse_order_.num_vgpr, 13
	.set _ZN9rocsparseL16valset_2d_kernelILj256El21rocsparse_complex_numIdEEEvT0_S3_lT1_PS4_16rocsparse_order_.num_agpr, 0
	.set _ZN9rocsparseL16valset_2d_kernelILj256El21rocsparse_complex_numIdEEEvT0_S3_lT1_PS4_16rocsparse_order_.numbered_sgpr, 22
	.set _ZN9rocsparseL16valset_2d_kernelILj256El21rocsparse_complex_numIdEEEvT0_S3_lT1_PS4_16rocsparse_order_.num_named_barrier, 0
	.set _ZN9rocsparseL16valset_2d_kernelILj256El21rocsparse_complex_numIdEEEvT0_S3_lT1_PS4_16rocsparse_order_.private_seg_size, 0
	.set _ZN9rocsparseL16valset_2d_kernelILj256El21rocsparse_complex_numIdEEEvT0_S3_lT1_PS4_16rocsparse_order_.uses_vcc, 1
	.set _ZN9rocsparseL16valset_2d_kernelILj256El21rocsparse_complex_numIdEEEvT0_S3_lT1_PS4_16rocsparse_order_.uses_flat_scratch, 0
	.set _ZN9rocsparseL16valset_2d_kernelILj256El21rocsparse_complex_numIdEEEvT0_S3_lT1_PS4_16rocsparse_order_.has_dyn_sized_stack, 0
	.set _ZN9rocsparseL16valset_2d_kernelILj256El21rocsparse_complex_numIdEEEvT0_S3_lT1_PS4_16rocsparse_order_.has_recursion, 0
	.set _ZN9rocsparseL16valset_2d_kernelILj256El21rocsparse_complex_numIdEEEvT0_S3_lT1_PS4_16rocsparse_order_.has_indirect_call, 0
	.section	.AMDGPU.csdata,"",@progbits
; Kernel info:
; codeLenInByte = 948
; TotalNumSgprs: 24
; NumVgprs: 13
; ScratchSize: 0
; MemoryBound: 0
; FloatMode: 240
; IeeeMode: 1
; LDSByteSize: 0 bytes/workgroup (compile time only)
; SGPRBlocks: 0
; VGPRBlocks: 0
; NumSGPRsForWavesPerEU: 24
; NumVGPRsForWavesPerEU: 13
; NamedBarCnt: 0
; Occupancy: 16
; WaveLimiterHint : 0
; COMPUTE_PGM_RSRC2:SCRATCH_EN: 0
; COMPUTE_PGM_RSRC2:USER_SGPR: 2
; COMPUTE_PGM_RSRC2:TRAP_HANDLER: 0
; COMPUTE_PGM_RSRC2:TGID_X_EN: 1
; COMPUTE_PGM_RSRC2:TGID_Y_EN: 0
; COMPUTE_PGM_RSRC2:TGID_Z_EN: 0
; COMPUTE_PGM_RSRC2:TIDIG_COMP_CNT: 0
	.section	.text._ZN9rocsparseL12scale_kernelILj256Ei18rocsparse_bfloat16fEEvT0_NS_24const_host_device_scalarIT2_EEPT1_b,"axG",@progbits,_ZN9rocsparseL12scale_kernelILj256Ei18rocsparse_bfloat16fEEvT0_NS_24const_host_device_scalarIT2_EEPT1_b,comdat
	.globl	_ZN9rocsparseL12scale_kernelILj256Ei18rocsparse_bfloat16fEEvT0_NS_24const_host_device_scalarIT2_EEPT1_b ; -- Begin function _ZN9rocsparseL12scale_kernelILj256Ei18rocsparse_bfloat16fEEvT0_NS_24const_host_device_scalarIT2_EEPT1_b
	.p2align	8
	.type	_ZN9rocsparseL12scale_kernelILj256Ei18rocsparse_bfloat16fEEvT0_NS_24const_host_device_scalarIT2_EEPT1_b,@function
_ZN9rocsparseL12scale_kernelILj256Ei18rocsparse_bfloat16fEEvT0_NS_24const_host_device_scalarIT2_EEPT1_b: ; @_ZN9rocsparseL12scale_kernelILj256Ei18rocsparse_bfloat16fEEvT0_NS_24const_host_device_scalarIT2_EEPT1_b
; %bb.0:
	s_clause 0x1
	s_load_b32 s4, s[0:1], 0x18
	s_load_b64 s[2:3], s[0:1], 0x8
	s_wait_kmcnt 0x0
	s_bitcmp1_b32 s4, 0
	s_cselect_b32 s4, -1, 0
	s_delay_alu instid0(SALU_CYCLE_1)
	s_and_b32 vcc_lo, exec_lo, s4
	s_cbranch_vccnz .LBB48_2
; %bb.1:
	s_load_b32 s2, s[2:3], 0x0
.LBB48_2:
	s_wait_kmcnt 0x0
	s_cmp_neq_f32 s2, 1.0
	s_load_b32 s3, s[0:1], 0x0
	s_getreg_b32 s7, hwreg(HW_REG_IB_STS2, 6, 4)
	s_cselect_b32 s4, -1, 0
	s_bfe_u32 s5, ttmp6, 0x4000c
	s_and_b32 s6, ttmp6, 15
	s_add_co_i32 s5, s5, 1
	s_delay_alu instid0(SALU_CYCLE_1) | instskip(NEXT) | instid1(SALU_CYCLE_1)
	s_mul_i32 s5, ttmp9, s5
	s_add_co_i32 s6, s6, s5
	s_cmp_eq_u32 s7, 0
	s_cselect_b32 s5, ttmp9, s6
	s_cmp_eq_f32 s2, 0
	v_lshl_or_b32 v0, s5, 8, v0
	s_cselect_b32 s2, -1, 0
	s_wait_kmcnt 0x0
	s_delay_alu instid0(VALU_DEP_1) | instskip(SKIP_1) | instid1(SALU_CYCLE_1)
	v_cmp_gt_i32_e32 vcc_lo, s3, v0
	s_and_b32 s2, vcc_lo, s2
	s_and_b32 s2, s4, s2
	s_delay_alu instid0(SALU_CYCLE_1)
	s_and_saveexec_b32 s3, s2
	s_cbranch_execz .LBB48_4
; %bb.3:
	s_load_b64 s[0:1], s[0:1], 0x10
	v_mov_b32_e32 v1, 0
	s_wait_kmcnt 0x0
	global_store_b16 v0, v1, s[0:1] scale_offset
.LBB48_4:
	s_endpgm
	.section	.rodata,"a",@progbits
	.p2align	6, 0x0
	.amdhsa_kernel _ZN9rocsparseL12scale_kernelILj256Ei18rocsparse_bfloat16fEEvT0_NS_24const_host_device_scalarIT2_EEPT1_b
		.amdhsa_group_segment_fixed_size 0
		.amdhsa_private_segment_fixed_size 0
		.amdhsa_kernarg_size 28
		.amdhsa_user_sgpr_count 2
		.amdhsa_user_sgpr_dispatch_ptr 0
		.amdhsa_user_sgpr_queue_ptr 0
		.amdhsa_user_sgpr_kernarg_segment_ptr 1
		.amdhsa_user_sgpr_dispatch_id 0
		.amdhsa_user_sgpr_kernarg_preload_length 0
		.amdhsa_user_sgpr_kernarg_preload_offset 0
		.amdhsa_user_sgpr_private_segment_size 0
		.amdhsa_wavefront_size32 1
		.amdhsa_uses_dynamic_stack 0
		.amdhsa_enable_private_segment 0
		.amdhsa_system_sgpr_workgroup_id_x 1
		.amdhsa_system_sgpr_workgroup_id_y 0
		.amdhsa_system_sgpr_workgroup_id_z 0
		.amdhsa_system_sgpr_workgroup_info 0
		.amdhsa_system_vgpr_workitem_id 0
		.amdhsa_next_free_vgpr 2
		.amdhsa_next_free_sgpr 8
		.amdhsa_named_barrier_count 0
		.amdhsa_reserve_vcc 1
		.amdhsa_float_round_mode_32 0
		.amdhsa_float_round_mode_16_64 0
		.amdhsa_float_denorm_mode_32 3
		.amdhsa_float_denorm_mode_16_64 3
		.amdhsa_fp16_overflow 0
		.amdhsa_memory_ordered 1
		.amdhsa_forward_progress 1
		.amdhsa_inst_pref_size 2
		.amdhsa_round_robin_scheduling 0
		.amdhsa_exception_fp_ieee_invalid_op 0
		.amdhsa_exception_fp_denorm_src 0
		.amdhsa_exception_fp_ieee_div_zero 0
		.amdhsa_exception_fp_ieee_overflow 0
		.amdhsa_exception_fp_ieee_underflow 0
		.amdhsa_exception_fp_ieee_inexact 0
		.amdhsa_exception_int_div_zero 0
	.end_amdhsa_kernel
	.section	.text._ZN9rocsparseL12scale_kernelILj256Ei18rocsparse_bfloat16fEEvT0_NS_24const_host_device_scalarIT2_EEPT1_b,"axG",@progbits,_ZN9rocsparseL12scale_kernelILj256Ei18rocsparse_bfloat16fEEvT0_NS_24const_host_device_scalarIT2_EEPT1_b,comdat
.Lfunc_end48:
	.size	_ZN9rocsparseL12scale_kernelILj256Ei18rocsparse_bfloat16fEEvT0_NS_24const_host_device_scalarIT2_EEPT1_b, .Lfunc_end48-_ZN9rocsparseL12scale_kernelILj256Ei18rocsparse_bfloat16fEEvT0_NS_24const_host_device_scalarIT2_EEPT1_b
                                        ; -- End function
	.set _ZN9rocsparseL12scale_kernelILj256Ei18rocsparse_bfloat16fEEvT0_NS_24const_host_device_scalarIT2_EEPT1_b.num_vgpr, 2
	.set _ZN9rocsparseL12scale_kernelILj256Ei18rocsparse_bfloat16fEEvT0_NS_24const_host_device_scalarIT2_EEPT1_b.num_agpr, 0
	.set _ZN9rocsparseL12scale_kernelILj256Ei18rocsparse_bfloat16fEEvT0_NS_24const_host_device_scalarIT2_EEPT1_b.numbered_sgpr, 8
	.set _ZN9rocsparseL12scale_kernelILj256Ei18rocsparse_bfloat16fEEvT0_NS_24const_host_device_scalarIT2_EEPT1_b.num_named_barrier, 0
	.set _ZN9rocsparseL12scale_kernelILj256Ei18rocsparse_bfloat16fEEvT0_NS_24const_host_device_scalarIT2_EEPT1_b.private_seg_size, 0
	.set _ZN9rocsparseL12scale_kernelILj256Ei18rocsparse_bfloat16fEEvT0_NS_24const_host_device_scalarIT2_EEPT1_b.uses_vcc, 1
	.set _ZN9rocsparseL12scale_kernelILj256Ei18rocsparse_bfloat16fEEvT0_NS_24const_host_device_scalarIT2_EEPT1_b.uses_flat_scratch, 0
	.set _ZN9rocsparseL12scale_kernelILj256Ei18rocsparse_bfloat16fEEvT0_NS_24const_host_device_scalarIT2_EEPT1_b.has_dyn_sized_stack, 0
	.set _ZN9rocsparseL12scale_kernelILj256Ei18rocsparse_bfloat16fEEvT0_NS_24const_host_device_scalarIT2_EEPT1_b.has_recursion, 0
	.set _ZN9rocsparseL12scale_kernelILj256Ei18rocsparse_bfloat16fEEvT0_NS_24const_host_device_scalarIT2_EEPT1_b.has_indirect_call, 0
	.section	.AMDGPU.csdata,"",@progbits
; Kernel info:
; codeLenInByte = 192
; TotalNumSgprs: 10
; NumVgprs: 2
; ScratchSize: 0
; MemoryBound: 0
; FloatMode: 240
; IeeeMode: 1
; LDSByteSize: 0 bytes/workgroup (compile time only)
; SGPRBlocks: 0
; VGPRBlocks: 0
; NumSGPRsForWavesPerEU: 10
; NumVGPRsForWavesPerEU: 2
; NamedBarCnt: 0
; Occupancy: 16
; WaveLimiterHint : 0
; COMPUTE_PGM_RSRC2:SCRATCH_EN: 0
; COMPUTE_PGM_RSRC2:USER_SGPR: 2
; COMPUTE_PGM_RSRC2:TRAP_HANDLER: 0
; COMPUTE_PGM_RSRC2:TGID_X_EN: 1
; COMPUTE_PGM_RSRC2:TGID_Y_EN: 0
; COMPUTE_PGM_RSRC2:TGID_Z_EN: 0
; COMPUTE_PGM_RSRC2:TIDIG_COMP_CNT: 0
	.section	.text._ZN9rocsparseL12scale_kernelILj256EiDF16_fEEvT0_NS_24const_host_device_scalarIT2_EEPT1_b,"axG",@progbits,_ZN9rocsparseL12scale_kernelILj256EiDF16_fEEvT0_NS_24const_host_device_scalarIT2_EEPT1_b,comdat
	.globl	_ZN9rocsparseL12scale_kernelILj256EiDF16_fEEvT0_NS_24const_host_device_scalarIT2_EEPT1_b ; -- Begin function _ZN9rocsparseL12scale_kernelILj256EiDF16_fEEvT0_NS_24const_host_device_scalarIT2_EEPT1_b
	.p2align	8
	.type	_ZN9rocsparseL12scale_kernelILj256EiDF16_fEEvT0_NS_24const_host_device_scalarIT2_EEPT1_b,@function
_ZN9rocsparseL12scale_kernelILj256EiDF16_fEEvT0_NS_24const_host_device_scalarIT2_EEPT1_b: ; @_ZN9rocsparseL12scale_kernelILj256EiDF16_fEEvT0_NS_24const_host_device_scalarIT2_EEPT1_b
; %bb.0:
	s_clause 0x1
	s_load_b32 s4, s[0:1], 0x18
	s_load_b64 s[2:3], s[0:1], 0x8
	s_wait_kmcnt 0x0
	s_bitcmp1_b32 s4, 0
	s_cselect_b32 s4, -1, 0
	s_delay_alu instid0(SALU_CYCLE_1)
	s_and_b32 vcc_lo, exec_lo, s4
	s_cbranch_vccnz .LBB49_2
; %bb.1:
	s_load_b32 s2, s[2:3], 0x0
.LBB49_2:
	s_wait_kmcnt 0x0
	s_cmp_eq_f32 s2, 1.0
	s_cbranch_scc1 .LBB49_8
; %bb.3:
	s_load_b32 s3, s[0:1], 0x0
	s_bfe_u32 s4, ttmp6, 0x4000c
	s_and_b32 s5, ttmp6, 15
	s_add_co_i32 s4, s4, 1
	s_getreg_b32 s6, hwreg(HW_REG_IB_STS2, 6, 4)
	s_mul_i32 s4, ttmp9, s4
	s_delay_alu instid0(SALU_CYCLE_1) | instskip(SKIP_2) | instid1(SALU_CYCLE_1)
	s_add_co_i32 s5, s5, s4
	s_cmp_eq_u32 s6, 0
	s_cselect_b32 s4, ttmp9, s5
	v_lshl_or_b32 v0, s4, 8, v0
	s_wait_kmcnt 0x0
	s_delay_alu instid0(VALU_DEP_1)
	v_cmp_gt_i32_e32 vcc_lo, s3, v0
	s_and_saveexec_b32 s3, vcc_lo
	s_cbranch_execz .LBB49_8
; %bb.4:
	s_load_b64 s[0:1], s[0:1], 0x10
	v_ashrrev_i32_e32 v1, 31, v0
	s_cmp_eq_f32 s2, 0
	s_wait_kmcnt 0x0
	s_delay_alu instid0(VALU_DEP_1)
	v_lshl_add_u64 v[0:1], v[0:1], 1, s[0:1]
	s_cbranch_scc1 .LBB49_6
; %bb.5:
	global_load_u16 v2, v[0:1], off
	s_wait_loadcnt 0x0
	v_fma_mixlo_f16 v2, s2, v2, 0 op_sel_hi:[0,1,0]
	s_branch .LBB49_7
.LBB49_6:
	v_mov_b32_e32 v2, 0
.LBB49_7:
	global_store_b16 v[0:1], v2, off
.LBB49_8:
	s_endpgm
	.section	.rodata,"a",@progbits
	.p2align	6, 0x0
	.amdhsa_kernel _ZN9rocsparseL12scale_kernelILj256EiDF16_fEEvT0_NS_24const_host_device_scalarIT2_EEPT1_b
		.amdhsa_group_segment_fixed_size 0
		.amdhsa_private_segment_fixed_size 0
		.amdhsa_kernarg_size 28
		.amdhsa_user_sgpr_count 2
		.amdhsa_user_sgpr_dispatch_ptr 0
		.amdhsa_user_sgpr_queue_ptr 0
		.amdhsa_user_sgpr_kernarg_segment_ptr 1
		.amdhsa_user_sgpr_dispatch_id 0
		.amdhsa_user_sgpr_kernarg_preload_length 0
		.amdhsa_user_sgpr_kernarg_preload_offset 0
		.amdhsa_user_sgpr_private_segment_size 0
		.amdhsa_wavefront_size32 1
		.amdhsa_uses_dynamic_stack 0
		.amdhsa_enable_private_segment 0
		.amdhsa_system_sgpr_workgroup_id_x 1
		.amdhsa_system_sgpr_workgroup_id_y 0
		.amdhsa_system_sgpr_workgroup_id_z 0
		.amdhsa_system_sgpr_workgroup_info 0
		.amdhsa_system_vgpr_workitem_id 0
		.amdhsa_next_free_vgpr 3
		.amdhsa_next_free_sgpr 7
		.amdhsa_named_barrier_count 0
		.amdhsa_reserve_vcc 1
		.amdhsa_float_round_mode_32 0
		.amdhsa_float_round_mode_16_64 0
		.amdhsa_float_denorm_mode_32 3
		.amdhsa_float_denorm_mode_16_64 3
		.amdhsa_fp16_overflow 0
		.amdhsa_memory_ordered 1
		.amdhsa_forward_progress 1
		.amdhsa_inst_pref_size 2
		.amdhsa_round_robin_scheduling 0
		.amdhsa_exception_fp_ieee_invalid_op 0
		.amdhsa_exception_fp_denorm_src 0
		.amdhsa_exception_fp_ieee_div_zero 0
		.amdhsa_exception_fp_ieee_overflow 0
		.amdhsa_exception_fp_ieee_underflow 0
		.amdhsa_exception_fp_ieee_inexact 0
		.amdhsa_exception_int_div_zero 0
	.end_amdhsa_kernel
	.section	.text._ZN9rocsparseL12scale_kernelILj256EiDF16_fEEvT0_NS_24const_host_device_scalarIT2_EEPT1_b,"axG",@progbits,_ZN9rocsparseL12scale_kernelILj256EiDF16_fEEvT0_NS_24const_host_device_scalarIT2_EEPT1_b,comdat
.Lfunc_end49:
	.size	_ZN9rocsparseL12scale_kernelILj256EiDF16_fEEvT0_NS_24const_host_device_scalarIT2_EEPT1_b, .Lfunc_end49-_ZN9rocsparseL12scale_kernelILj256EiDF16_fEEvT0_NS_24const_host_device_scalarIT2_EEPT1_b
                                        ; -- End function
	.set _ZN9rocsparseL12scale_kernelILj256EiDF16_fEEvT0_NS_24const_host_device_scalarIT2_EEPT1_b.num_vgpr, 3
	.set _ZN9rocsparseL12scale_kernelILj256EiDF16_fEEvT0_NS_24const_host_device_scalarIT2_EEPT1_b.num_agpr, 0
	.set _ZN9rocsparseL12scale_kernelILj256EiDF16_fEEvT0_NS_24const_host_device_scalarIT2_EEPT1_b.numbered_sgpr, 7
	.set _ZN9rocsparseL12scale_kernelILj256EiDF16_fEEvT0_NS_24const_host_device_scalarIT2_EEPT1_b.num_named_barrier, 0
	.set _ZN9rocsparseL12scale_kernelILj256EiDF16_fEEvT0_NS_24const_host_device_scalarIT2_EEPT1_b.private_seg_size, 0
	.set _ZN9rocsparseL12scale_kernelILj256EiDF16_fEEvT0_NS_24const_host_device_scalarIT2_EEPT1_b.uses_vcc, 1
	.set _ZN9rocsparseL12scale_kernelILj256EiDF16_fEEvT0_NS_24const_host_device_scalarIT2_EEPT1_b.uses_flat_scratch, 0
	.set _ZN9rocsparseL12scale_kernelILj256EiDF16_fEEvT0_NS_24const_host_device_scalarIT2_EEPT1_b.has_dyn_sized_stack, 0
	.set _ZN9rocsparseL12scale_kernelILj256EiDF16_fEEvT0_NS_24const_host_device_scalarIT2_EEPT1_b.has_recursion, 0
	.set _ZN9rocsparseL12scale_kernelILj256EiDF16_fEEvT0_NS_24const_host_device_scalarIT2_EEPT1_b.has_indirect_call, 0
	.section	.AMDGPU.csdata,"",@progbits
; Kernel info:
; codeLenInByte = 224
; TotalNumSgprs: 9
; NumVgprs: 3
; ScratchSize: 0
; MemoryBound: 0
; FloatMode: 240
; IeeeMode: 1
; LDSByteSize: 0 bytes/workgroup (compile time only)
; SGPRBlocks: 0
; VGPRBlocks: 0
; NumSGPRsForWavesPerEU: 9
; NumVGPRsForWavesPerEU: 3
; NamedBarCnt: 0
; Occupancy: 16
; WaveLimiterHint : 0
; COMPUTE_PGM_RSRC2:SCRATCH_EN: 0
; COMPUTE_PGM_RSRC2:USER_SGPR: 2
; COMPUTE_PGM_RSRC2:TRAP_HANDLER: 0
; COMPUTE_PGM_RSRC2:TGID_X_EN: 1
; COMPUTE_PGM_RSRC2:TGID_Y_EN: 0
; COMPUTE_PGM_RSRC2:TGID_Z_EN: 0
; COMPUTE_PGM_RSRC2:TIDIG_COMP_CNT: 0
	.section	.text._ZN9rocsparseL12scale_kernelILj256EiiiEEvT0_NS_24const_host_device_scalarIT2_EEPT1_b,"axG",@progbits,_ZN9rocsparseL12scale_kernelILj256EiiiEEvT0_NS_24const_host_device_scalarIT2_EEPT1_b,comdat
	.globl	_ZN9rocsparseL12scale_kernelILj256EiiiEEvT0_NS_24const_host_device_scalarIT2_EEPT1_b ; -- Begin function _ZN9rocsparseL12scale_kernelILj256EiiiEEvT0_NS_24const_host_device_scalarIT2_EEPT1_b
	.p2align	8
	.type	_ZN9rocsparseL12scale_kernelILj256EiiiEEvT0_NS_24const_host_device_scalarIT2_EEPT1_b,@function
_ZN9rocsparseL12scale_kernelILj256EiiiEEvT0_NS_24const_host_device_scalarIT2_EEPT1_b: ; @_ZN9rocsparseL12scale_kernelILj256EiiiEEvT0_NS_24const_host_device_scalarIT2_EEPT1_b
; %bb.0:
	s_clause 0x1
	s_load_b32 s4, s[0:1], 0x18
	s_load_b64 s[2:3], s[0:1], 0x8
	s_wait_kmcnt 0x0
	s_bitcmp0_b32 s4, 0
	s_mov_b32 s4, 0
	s_cbranch_scc0 .LBB50_2
; %bb.1:
	s_load_b32 s3, s[2:3], 0x0
	s_and_not1_b32 vcc_lo, exec_lo, s4
	s_cbranch_vccz .LBB50_3
	s_branch .LBB50_4
.LBB50_2:
                                        ; implicit-def: $sgpr3
.LBB50_3:
	s_wait_kmcnt 0x0
	s_mov_b32 s3, s2
.LBB50_4:
	s_wait_kmcnt 0x0
	s_cmp_eq_u32 s3, 1
	s_cbranch_scc1 .LBB50_10
; %bb.5:
	s_load_b32 s2, s[0:1], 0x0
	s_bfe_u32 s4, ttmp6, 0x4000c
	s_and_b32 s5, ttmp6, 15
	s_add_co_i32 s4, s4, 1
	s_getreg_b32 s6, hwreg(HW_REG_IB_STS2, 6, 4)
	s_mul_i32 s4, ttmp9, s4
	s_delay_alu instid0(SALU_CYCLE_1) | instskip(SKIP_2) | instid1(SALU_CYCLE_1)
	s_add_co_i32 s5, s5, s4
	s_cmp_eq_u32 s6, 0
	s_cselect_b32 s4, ttmp9, s5
	v_lshl_or_b32 v0, s4, 8, v0
	s_wait_kmcnt 0x0
	s_delay_alu instid0(VALU_DEP_1)
	v_cmp_gt_i32_e32 vcc_lo, s2, v0
	s_and_saveexec_b32 s2, vcc_lo
	s_cbranch_execz .LBB50_10
; %bb.6:
	s_load_b64 s[0:1], s[0:1], 0x10
	v_ashrrev_i32_e32 v1, 31, v0
	s_cmp_eq_u32 s3, 0
	s_wait_kmcnt 0x0
	s_delay_alu instid0(VALU_DEP_1)
	v_lshl_add_u64 v[0:1], v[0:1], 2, s[0:1]
	s_cbranch_scc1 .LBB50_8
; %bb.7:
	global_load_b32 v2, v[0:1], off
	s_wait_loadcnt 0x0
	v_mul_lo_u32 v2, v2, s3
	s_branch .LBB50_9
.LBB50_8:
	v_mov_b32_e32 v2, 0
.LBB50_9:
	global_store_b32 v[0:1], v2, off
.LBB50_10:
	s_endpgm
	.section	.rodata,"a",@progbits
	.p2align	6, 0x0
	.amdhsa_kernel _ZN9rocsparseL12scale_kernelILj256EiiiEEvT0_NS_24const_host_device_scalarIT2_EEPT1_b
		.amdhsa_group_segment_fixed_size 0
		.amdhsa_private_segment_fixed_size 0
		.amdhsa_kernarg_size 28
		.amdhsa_user_sgpr_count 2
		.amdhsa_user_sgpr_dispatch_ptr 0
		.amdhsa_user_sgpr_queue_ptr 0
		.amdhsa_user_sgpr_kernarg_segment_ptr 1
		.amdhsa_user_sgpr_dispatch_id 0
		.amdhsa_user_sgpr_kernarg_preload_length 0
		.amdhsa_user_sgpr_kernarg_preload_offset 0
		.amdhsa_user_sgpr_private_segment_size 0
		.amdhsa_wavefront_size32 1
		.amdhsa_uses_dynamic_stack 0
		.amdhsa_enable_private_segment 0
		.amdhsa_system_sgpr_workgroup_id_x 1
		.amdhsa_system_sgpr_workgroup_id_y 0
		.amdhsa_system_sgpr_workgroup_id_z 0
		.amdhsa_system_sgpr_workgroup_info 0
		.amdhsa_system_vgpr_workitem_id 0
		.amdhsa_next_free_vgpr 3
		.amdhsa_next_free_sgpr 7
		.amdhsa_named_barrier_count 0
		.amdhsa_reserve_vcc 1
		.amdhsa_float_round_mode_32 0
		.amdhsa_float_round_mode_16_64 0
		.amdhsa_float_denorm_mode_32 3
		.amdhsa_float_denorm_mode_16_64 3
		.amdhsa_fp16_overflow 0
		.amdhsa_memory_ordered 1
		.amdhsa_forward_progress 1
		.amdhsa_inst_pref_size 2
		.amdhsa_round_robin_scheduling 0
		.amdhsa_exception_fp_ieee_invalid_op 0
		.amdhsa_exception_fp_denorm_src 0
		.amdhsa_exception_fp_ieee_div_zero 0
		.amdhsa_exception_fp_ieee_overflow 0
		.amdhsa_exception_fp_ieee_underflow 0
		.amdhsa_exception_fp_ieee_inexact 0
		.amdhsa_exception_int_div_zero 0
	.end_amdhsa_kernel
	.section	.text._ZN9rocsparseL12scale_kernelILj256EiiiEEvT0_NS_24const_host_device_scalarIT2_EEPT1_b,"axG",@progbits,_ZN9rocsparseL12scale_kernelILj256EiiiEEvT0_NS_24const_host_device_scalarIT2_EEPT1_b,comdat
.Lfunc_end50:
	.size	_ZN9rocsparseL12scale_kernelILj256EiiiEEvT0_NS_24const_host_device_scalarIT2_EEPT1_b, .Lfunc_end50-_ZN9rocsparseL12scale_kernelILj256EiiiEEvT0_NS_24const_host_device_scalarIT2_EEPT1_b
                                        ; -- End function
	.set _ZN9rocsparseL12scale_kernelILj256EiiiEEvT0_NS_24const_host_device_scalarIT2_EEPT1_b.num_vgpr, 3
	.set _ZN9rocsparseL12scale_kernelILj256EiiiEEvT0_NS_24const_host_device_scalarIT2_EEPT1_b.num_agpr, 0
	.set _ZN9rocsparseL12scale_kernelILj256EiiiEEvT0_NS_24const_host_device_scalarIT2_EEPT1_b.numbered_sgpr, 7
	.set _ZN9rocsparseL12scale_kernelILj256EiiiEEvT0_NS_24const_host_device_scalarIT2_EEPT1_b.num_named_barrier, 0
	.set _ZN9rocsparseL12scale_kernelILj256EiiiEEvT0_NS_24const_host_device_scalarIT2_EEPT1_b.private_seg_size, 0
	.set _ZN9rocsparseL12scale_kernelILj256EiiiEEvT0_NS_24const_host_device_scalarIT2_EEPT1_b.uses_vcc, 1
	.set _ZN9rocsparseL12scale_kernelILj256EiiiEEvT0_NS_24const_host_device_scalarIT2_EEPT1_b.uses_flat_scratch, 0
	.set _ZN9rocsparseL12scale_kernelILj256EiiiEEvT0_NS_24const_host_device_scalarIT2_EEPT1_b.has_dyn_sized_stack, 0
	.set _ZN9rocsparseL12scale_kernelILj256EiiiEEvT0_NS_24const_host_device_scalarIT2_EEPT1_b.has_recursion, 0
	.set _ZN9rocsparseL12scale_kernelILj256EiiiEEvT0_NS_24const_host_device_scalarIT2_EEPT1_b.has_indirect_call, 0
	.section	.AMDGPU.csdata,"",@progbits
; Kernel info:
; codeLenInByte = 236
; TotalNumSgprs: 9
; NumVgprs: 3
; ScratchSize: 0
; MemoryBound: 0
; FloatMode: 240
; IeeeMode: 1
; LDSByteSize: 0 bytes/workgroup (compile time only)
; SGPRBlocks: 0
; VGPRBlocks: 0
; NumSGPRsForWavesPerEU: 9
; NumVGPRsForWavesPerEU: 3
; NamedBarCnt: 0
; Occupancy: 16
; WaveLimiterHint : 0
; COMPUTE_PGM_RSRC2:SCRATCH_EN: 0
; COMPUTE_PGM_RSRC2:USER_SGPR: 2
; COMPUTE_PGM_RSRC2:TRAP_HANDLER: 0
; COMPUTE_PGM_RSRC2:TGID_X_EN: 1
; COMPUTE_PGM_RSRC2:TGID_Y_EN: 0
; COMPUTE_PGM_RSRC2:TGID_Z_EN: 0
; COMPUTE_PGM_RSRC2:TIDIG_COMP_CNT: 0
	.section	.text._ZN9rocsparseL12scale_kernelILj256EiffEEvT0_NS_24const_host_device_scalarIT2_EEPT1_b,"axG",@progbits,_ZN9rocsparseL12scale_kernelILj256EiffEEvT0_NS_24const_host_device_scalarIT2_EEPT1_b,comdat
	.globl	_ZN9rocsparseL12scale_kernelILj256EiffEEvT0_NS_24const_host_device_scalarIT2_EEPT1_b ; -- Begin function _ZN9rocsparseL12scale_kernelILj256EiffEEvT0_NS_24const_host_device_scalarIT2_EEPT1_b
	.p2align	8
	.type	_ZN9rocsparseL12scale_kernelILj256EiffEEvT0_NS_24const_host_device_scalarIT2_EEPT1_b,@function
_ZN9rocsparseL12scale_kernelILj256EiffEEvT0_NS_24const_host_device_scalarIT2_EEPT1_b: ; @_ZN9rocsparseL12scale_kernelILj256EiffEEvT0_NS_24const_host_device_scalarIT2_EEPT1_b
; %bb.0:
	s_clause 0x1
	s_load_b32 s4, s[0:1], 0x18
	s_load_b64 s[2:3], s[0:1], 0x8
	s_wait_kmcnt 0x0
	s_bitcmp1_b32 s4, 0
	s_cselect_b32 s4, -1, 0
	s_delay_alu instid0(SALU_CYCLE_1)
	s_and_b32 vcc_lo, exec_lo, s4
	s_cbranch_vccnz .LBB51_2
; %bb.1:
	s_load_b32 s2, s[2:3], 0x0
.LBB51_2:
	s_wait_kmcnt 0x0
	s_cmp_eq_f32 s2, 1.0
	s_cbranch_scc1 .LBB51_8
; %bb.3:
	s_load_b32 s3, s[0:1], 0x0
	s_bfe_u32 s4, ttmp6, 0x4000c
	s_and_b32 s5, ttmp6, 15
	s_add_co_i32 s4, s4, 1
	s_getreg_b32 s6, hwreg(HW_REG_IB_STS2, 6, 4)
	s_mul_i32 s4, ttmp9, s4
	s_delay_alu instid0(SALU_CYCLE_1) | instskip(SKIP_2) | instid1(SALU_CYCLE_1)
	s_add_co_i32 s5, s5, s4
	s_cmp_eq_u32 s6, 0
	s_cselect_b32 s4, ttmp9, s5
	v_lshl_or_b32 v0, s4, 8, v0
	s_wait_kmcnt 0x0
	s_delay_alu instid0(VALU_DEP_1)
	v_cmp_gt_i32_e32 vcc_lo, s3, v0
	s_and_saveexec_b32 s3, vcc_lo
	s_cbranch_execz .LBB51_8
; %bb.4:
	s_load_b64 s[0:1], s[0:1], 0x10
	v_ashrrev_i32_e32 v1, 31, v0
	s_cmp_eq_f32 s2, 0
	s_wait_kmcnt 0x0
	s_delay_alu instid0(VALU_DEP_1)
	v_lshl_add_u64 v[0:1], v[0:1], 2, s[0:1]
	s_cbranch_scc1 .LBB51_6
; %bb.5:
	global_load_b32 v2, v[0:1], off
	s_wait_loadcnt 0x0
	v_mul_f32_e32 v2, s2, v2
	s_branch .LBB51_7
.LBB51_6:
	v_mov_b32_e32 v2, 0
.LBB51_7:
	global_store_b32 v[0:1], v2, off
.LBB51_8:
	s_endpgm
	.section	.rodata,"a",@progbits
	.p2align	6, 0x0
	.amdhsa_kernel _ZN9rocsparseL12scale_kernelILj256EiffEEvT0_NS_24const_host_device_scalarIT2_EEPT1_b
		.amdhsa_group_segment_fixed_size 0
		.amdhsa_private_segment_fixed_size 0
		.amdhsa_kernarg_size 28
		.amdhsa_user_sgpr_count 2
		.amdhsa_user_sgpr_dispatch_ptr 0
		.amdhsa_user_sgpr_queue_ptr 0
		.amdhsa_user_sgpr_kernarg_segment_ptr 1
		.amdhsa_user_sgpr_dispatch_id 0
		.amdhsa_user_sgpr_kernarg_preload_length 0
		.amdhsa_user_sgpr_kernarg_preload_offset 0
		.amdhsa_user_sgpr_private_segment_size 0
		.amdhsa_wavefront_size32 1
		.amdhsa_uses_dynamic_stack 0
		.amdhsa_enable_private_segment 0
		.amdhsa_system_sgpr_workgroup_id_x 1
		.amdhsa_system_sgpr_workgroup_id_y 0
		.amdhsa_system_sgpr_workgroup_id_z 0
		.amdhsa_system_sgpr_workgroup_info 0
		.amdhsa_system_vgpr_workitem_id 0
		.amdhsa_next_free_vgpr 3
		.amdhsa_next_free_sgpr 7
		.amdhsa_named_barrier_count 0
		.amdhsa_reserve_vcc 1
		.amdhsa_float_round_mode_32 0
		.amdhsa_float_round_mode_16_64 0
		.amdhsa_float_denorm_mode_32 3
		.amdhsa_float_denorm_mode_16_64 3
		.amdhsa_fp16_overflow 0
		.amdhsa_memory_ordered 1
		.amdhsa_forward_progress 1
		.amdhsa_inst_pref_size 2
		.amdhsa_round_robin_scheduling 0
		.amdhsa_exception_fp_ieee_invalid_op 0
		.amdhsa_exception_fp_denorm_src 0
		.amdhsa_exception_fp_ieee_div_zero 0
		.amdhsa_exception_fp_ieee_overflow 0
		.amdhsa_exception_fp_ieee_underflow 0
		.amdhsa_exception_fp_ieee_inexact 0
		.amdhsa_exception_int_div_zero 0
	.end_amdhsa_kernel
	.section	.text._ZN9rocsparseL12scale_kernelILj256EiffEEvT0_NS_24const_host_device_scalarIT2_EEPT1_b,"axG",@progbits,_ZN9rocsparseL12scale_kernelILj256EiffEEvT0_NS_24const_host_device_scalarIT2_EEPT1_b,comdat
.Lfunc_end51:
	.size	_ZN9rocsparseL12scale_kernelILj256EiffEEvT0_NS_24const_host_device_scalarIT2_EEPT1_b, .Lfunc_end51-_ZN9rocsparseL12scale_kernelILj256EiffEEvT0_NS_24const_host_device_scalarIT2_EEPT1_b
                                        ; -- End function
	.set _ZN9rocsparseL12scale_kernelILj256EiffEEvT0_NS_24const_host_device_scalarIT2_EEPT1_b.num_vgpr, 3
	.set _ZN9rocsparseL12scale_kernelILj256EiffEEvT0_NS_24const_host_device_scalarIT2_EEPT1_b.num_agpr, 0
	.set _ZN9rocsparseL12scale_kernelILj256EiffEEvT0_NS_24const_host_device_scalarIT2_EEPT1_b.numbered_sgpr, 7
	.set _ZN9rocsparseL12scale_kernelILj256EiffEEvT0_NS_24const_host_device_scalarIT2_EEPT1_b.num_named_barrier, 0
	.set _ZN9rocsparseL12scale_kernelILj256EiffEEvT0_NS_24const_host_device_scalarIT2_EEPT1_b.private_seg_size, 0
	.set _ZN9rocsparseL12scale_kernelILj256EiffEEvT0_NS_24const_host_device_scalarIT2_EEPT1_b.uses_vcc, 1
	.set _ZN9rocsparseL12scale_kernelILj256EiffEEvT0_NS_24const_host_device_scalarIT2_EEPT1_b.uses_flat_scratch, 0
	.set _ZN9rocsparseL12scale_kernelILj256EiffEEvT0_NS_24const_host_device_scalarIT2_EEPT1_b.has_dyn_sized_stack, 0
	.set _ZN9rocsparseL12scale_kernelILj256EiffEEvT0_NS_24const_host_device_scalarIT2_EEPT1_b.has_recursion, 0
	.set _ZN9rocsparseL12scale_kernelILj256EiffEEvT0_NS_24const_host_device_scalarIT2_EEPT1_b.has_indirect_call, 0
	.section	.AMDGPU.csdata,"",@progbits
; Kernel info:
; codeLenInByte = 220
; TotalNumSgprs: 9
; NumVgprs: 3
; ScratchSize: 0
; MemoryBound: 0
; FloatMode: 240
; IeeeMode: 1
; LDSByteSize: 0 bytes/workgroup (compile time only)
; SGPRBlocks: 0
; VGPRBlocks: 0
; NumSGPRsForWavesPerEU: 9
; NumVGPRsForWavesPerEU: 3
; NamedBarCnt: 0
; Occupancy: 16
; WaveLimiterHint : 0
; COMPUTE_PGM_RSRC2:SCRATCH_EN: 0
; COMPUTE_PGM_RSRC2:USER_SGPR: 2
; COMPUTE_PGM_RSRC2:TRAP_HANDLER: 0
; COMPUTE_PGM_RSRC2:TGID_X_EN: 1
; COMPUTE_PGM_RSRC2:TGID_Y_EN: 0
; COMPUTE_PGM_RSRC2:TGID_Z_EN: 0
; COMPUTE_PGM_RSRC2:TIDIG_COMP_CNT: 0
	.section	.text._ZN9rocsparseL12scale_kernelILj256EiddEEvT0_NS_24const_host_device_scalarIT2_EEPT1_b,"axG",@progbits,_ZN9rocsparseL12scale_kernelILj256EiddEEvT0_NS_24const_host_device_scalarIT2_EEPT1_b,comdat
	.globl	_ZN9rocsparseL12scale_kernelILj256EiddEEvT0_NS_24const_host_device_scalarIT2_EEPT1_b ; -- Begin function _ZN9rocsparseL12scale_kernelILj256EiddEEvT0_NS_24const_host_device_scalarIT2_EEPT1_b
	.p2align	8
	.type	_ZN9rocsparseL12scale_kernelILj256EiddEEvT0_NS_24const_host_device_scalarIT2_EEPT1_b,@function
_ZN9rocsparseL12scale_kernelILj256EiddEEvT0_NS_24const_host_device_scalarIT2_EEPT1_b: ; @_ZN9rocsparseL12scale_kernelILj256EiddEEvT0_NS_24const_host_device_scalarIT2_EEPT1_b
; %bb.0:
	s_clause 0x1
	s_load_b32 s4, s[0:1], 0x18
	s_load_b64 s[2:3], s[0:1], 0x8
	s_wait_kmcnt 0x0
	s_bitcmp1_b32 s4, 0
	v_mov_b64_e32 v[2:3], s[2:3]
	s_cselect_b32 s4, -1, 0
	s_delay_alu instid0(SALU_CYCLE_1)
	s_and_b32 vcc_lo, exec_lo, s4
	s_cbranch_vccnz .LBB52_2
; %bb.1:
	v_mov_b32_e32 v1, 0
	flat_load_b64 v[2:3], v1, s[2:3]
.LBB52_2:
	s_wait_xcnt 0x0
	s_mov_b32 s2, exec_lo
	s_wait_loadcnt_dscnt 0x0
	v_cmpx_neq_f64_e32 1.0, v[2:3]
	s_cbranch_execz .LBB52_7
; %bb.3:
	s_load_b32 s2, s[0:1], 0x0
	s_bfe_u32 s3, ttmp6, 0x4000c
	s_and_b32 s4, ttmp6, 15
	s_add_co_i32 s3, s3, 1
	s_getreg_b32 s5, hwreg(HW_REG_IB_STS2, 6, 4)
	s_mul_i32 s3, ttmp9, s3
	s_delay_alu instid0(SALU_CYCLE_1) | instskip(SKIP_2) | instid1(SALU_CYCLE_1)
	s_add_co_i32 s4, s4, s3
	s_cmp_eq_u32 s5, 0
	s_cselect_b32 s3, ttmp9, s4
	v_lshl_or_b32 v0, s3, 8, v0
	s_wait_kmcnt 0x0
	s_delay_alu instid0(VALU_DEP_1)
	v_cmp_gt_i32_e32 vcc_lo, s2, v0
	s_and_b32 exec_lo, exec_lo, vcc_lo
	s_cbranch_execz .LBB52_7
; %bb.4:
	s_load_b64 s[0:1], s[0:1], 0x10
	v_ashrrev_i32_e32 v1, 31, v0
	v_mov_b64_e32 v[4:5], 0
	s_wait_kmcnt 0x0
	s_delay_alu instid0(VALU_DEP_2)
	v_lshl_add_u64 v[0:1], v[0:1], 3, s[0:1]
	s_mov_b32 s0, exec_lo
	v_cmpx_neq_f64_e32 0, v[2:3]
	s_cbranch_execz .LBB52_6
; %bb.5:
	global_load_b64 v[4:5], v[0:1], off
	s_wait_loadcnt 0x0
	v_mul_f64_e32 v[4:5], v[2:3], v[4:5]
.LBB52_6:
	s_or_b32 exec_lo, exec_lo, s0
	global_store_b64 v[0:1], v[4:5], off
.LBB52_7:
	s_endpgm
	.section	.rodata,"a",@progbits
	.p2align	6, 0x0
	.amdhsa_kernel _ZN9rocsparseL12scale_kernelILj256EiddEEvT0_NS_24const_host_device_scalarIT2_EEPT1_b
		.amdhsa_group_segment_fixed_size 0
		.amdhsa_private_segment_fixed_size 0
		.amdhsa_kernarg_size 28
		.amdhsa_user_sgpr_count 2
		.amdhsa_user_sgpr_dispatch_ptr 0
		.amdhsa_user_sgpr_queue_ptr 0
		.amdhsa_user_sgpr_kernarg_segment_ptr 1
		.amdhsa_user_sgpr_dispatch_id 0
		.amdhsa_user_sgpr_kernarg_preload_length 0
		.amdhsa_user_sgpr_kernarg_preload_offset 0
		.amdhsa_user_sgpr_private_segment_size 0
		.amdhsa_wavefront_size32 1
		.amdhsa_uses_dynamic_stack 0
		.amdhsa_enable_private_segment 0
		.amdhsa_system_sgpr_workgroup_id_x 1
		.amdhsa_system_sgpr_workgroup_id_y 0
		.amdhsa_system_sgpr_workgroup_id_z 0
		.amdhsa_system_sgpr_workgroup_info 0
		.amdhsa_system_vgpr_workitem_id 0
		.amdhsa_next_free_vgpr 6
		.amdhsa_next_free_sgpr 6
		.amdhsa_named_barrier_count 0
		.amdhsa_reserve_vcc 1
		.amdhsa_float_round_mode_32 0
		.amdhsa_float_round_mode_16_64 0
		.amdhsa_float_denorm_mode_32 3
		.amdhsa_float_denorm_mode_16_64 3
		.amdhsa_fp16_overflow 0
		.amdhsa_memory_ordered 1
		.amdhsa_forward_progress 1
		.amdhsa_inst_pref_size 2
		.amdhsa_round_robin_scheduling 0
		.amdhsa_exception_fp_ieee_invalid_op 0
		.amdhsa_exception_fp_denorm_src 0
		.amdhsa_exception_fp_ieee_div_zero 0
		.amdhsa_exception_fp_ieee_overflow 0
		.amdhsa_exception_fp_ieee_underflow 0
		.amdhsa_exception_fp_ieee_inexact 0
		.amdhsa_exception_int_div_zero 0
	.end_amdhsa_kernel
	.section	.text._ZN9rocsparseL12scale_kernelILj256EiddEEvT0_NS_24const_host_device_scalarIT2_EEPT1_b,"axG",@progbits,_ZN9rocsparseL12scale_kernelILj256EiddEEvT0_NS_24const_host_device_scalarIT2_EEPT1_b,comdat
.Lfunc_end52:
	.size	_ZN9rocsparseL12scale_kernelILj256EiddEEvT0_NS_24const_host_device_scalarIT2_EEPT1_b, .Lfunc_end52-_ZN9rocsparseL12scale_kernelILj256EiddEEvT0_NS_24const_host_device_scalarIT2_EEPT1_b
                                        ; -- End function
	.set _ZN9rocsparseL12scale_kernelILj256EiddEEvT0_NS_24const_host_device_scalarIT2_EEPT1_b.num_vgpr, 6
	.set _ZN9rocsparseL12scale_kernelILj256EiddEEvT0_NS_24const_host_device_scalarIT2_EEPT1_b.num_agpr, 0
	.set _ZN9rocsparseL12scale_kernelILj256EiddEEvT0_NS_24const_host_device_scalarIT2_EEPT1_b.numbered_sgpr, 6
	.set _ZN9rocsparseL12scale_kernelILj256EiddEEvT0_NS_24const_host_device_scalarIT2_EEPT1_b.num_named_barrier, 0
	.set _ZN9rocsparseL12scale_kernelILj256EiddEEvT0_NS_24const_host_device_scalarIT2_EEPT1_b.private_seg_size, 0
	.set _ZN9rocsparseL12scale_kernelILj256EiddEEvT0_NS_24const_host_device_scalarIT2_EEPT1_b.uses_vcc, 1
	.set _ZN9rocsparseL12scale_kernelILj256EiddEEvT0_NS_24const_host_device_scalarIT2_EEPT1_b.uses_flat_scratch, 0
	.set _ZN9rocsparseL12scale_kernelILj256EiddEEvT0_NS_24const_host_device_scalarIT2_EEPT1_b.has_dyn_sized_stack, 0
	.set _ZN9rocsparseL12scale_kernelILj256EiddEEvT0_NS_24const_host_device_scalarIT2_EEPT1_b.has_recursion, 0
	.set _ZN9rocsparseL12scale_kernelILj256EiddEEvT0_NS_24const_host_device_scalarIT2_EEPT1_b.has_indirect_call, 0
	.section	.AMDGPU.csdata,"",@progbits
; Kernel info:
; codeLenInByte = 244
; TotalNumSgprs: 8
; NumVgprs: 6
; ScratchSize: 0
; MemoryBound: 1
; FloatMode: 240
; IeeeMode: 1
; LDSByteSize: 0 bytes/workgroup (compile time only)
; SGPRBlocks: 0
; VGPRBlocks: 0
; NumSGPRsForWavesPerEU: 8
; NumVGPRsForWavesPerEU: 6
; NamedBarCnt: 0
; Occupancy: 16
; WaveLimiterHint : 0
; COMPUTE_PGM_RSRC2:SCRATCH_EN: 0
; COMPUTE_PGM_RSRC2:USER_SGPR: 2
; COMPUTE_PGM_RSRC2:TRAP_HANDLER: 0
; COMPUTE_PGM_RSRC2:TGID_X_EN: 1
; COMPUTE_PGM_RSRC2:TGID_Y_EN: 0
; COMPUTE_PGM_RSRC2:TGID_Z_EN: 0
; COMPUTE_PGM_RSRC2:TIDIG_COMP_CNT: 0
	.section	.text._ZN9rocsparseL12scale_kernelILj256Ei21rocsparse_complex_numIfES2_EEvT0_NS_24const_host_device_scalarIT2_EEPT1_b,"axG",@progbits,_ZN9rocsparseL12scale_kernelILj256Ei21rocsparse_complex_numIfES2_EEvT0_NS_24const_host_device_scalarIT2_EEPT1_b,comdat
	.globl	_ZN9rocsparseL12scale_kernelILj256Ei21rocsparse_complex_numIfES2_EEvT0_NS_24const_host_device_scalarIT2_EEPT1_b ; -- Begin function _ZN9rocsparseL12scale_kernelILj256Ei21rocsparse_complex_numIfES2_EEvT0_NS_24const_host_device_scalarIT2_EEPT1_b
	.p2align	8
	.type	_ZN9rocsparseL12scale_kernelILj256Ei21rocsparse_complex_numIfES2_EEvT0_NS_24const_host_device_scalarIT2_EEPT1_b,@function
_ZN9rocsparseL12scale_kernelILj256Ei21rocsparse_complex_numIfES2_EEvT0_NS_24const_host_device_scalarIT2_EEPT1_b: ; @_ZN9rocsparseL12scale_kernelILj256Ei21rocsparse_complex_numIfES2_EEvT0_NS_24const_host_device_scalarIT2_EEPT1_b
; %bb.0:
	s_clause 0x1
	s_load_b32 s6, s[0:1], 0x18
	s_load_b64 s[2:3], s[0:1], 0x8
	v_mov_b32_e32 v1, 0
	s_add_nc_u64 s[4:5], s[0:1], 8
	s_wait_kmcnt 0x0
	s_bitcmp1_b32 s6, 0
	s_cselect_b32 s3, s5, s3
	s_cselect_b32 s2, s4, s2
	flat_load_b64 v[2:3], v1, s[2:3]
	s_wait_loadcnt_dscnt 0x0
	v_cmp_neq_f32_e32 vcc_lo, 1.0, v2
	v_cmp_neq_f32_e64 s2, 0, v3
	s_or_b32 s2, vcc_lo, s2
	s_delay_alu instid0(SALU_CYCLE_1)
	s_and_saveexec_b32 s3, s2
	s_cbranch_execz .LBB53_6
; %bb.1:
	s_load_b32 s2, s[0:1], 0x0
	s_bfe_u32 s3, ttmp6, 0x4000c
	s_and_b32 s4, ttmp6, 15
	s_add_co_i32 s3, s3, 1
	s_getreg_b32 s5, hwreg(HW_REG_IB_STS2, 6, 4)
	s_mul_i32 s3, ttmp9, s3
	s_delay_alu instid0(SALU_CYCLE_1) | instskip(SKIP_2) | instid1(SALU_CYCLE_1)
	s_add_co_i32 s4, s4, s3
	s_cmp_eq_u32 s5, 0
	s_cselect_b32 s3, ttmp9, s4
	v_lshl_or_b32 v0, s3, 8, v0
	s_wait_kmcnt 0x0
	s_delay_alu instid0(VALU_DEP_1)
	v_cmp_gt_i32_e32 vcc_lo, s2, v0
	s_and_b32 exec_lo, exec_lo, vcc_lo
	s_cbranch_execz .LBB53_6
; %bb.2:
	s_load_b64 s[2:3], s[0:1], 0x10
	v_ashrrev_i32_e32 v1, 31, v0
	v_cmp_neq_f32_e32 vcc_lo, 0, v2
	s_wait_xcnt 0x0
	v_cmp_neq_f32_e64 s0, 0, v3
	s_or_b32 s0, vcc_lo, s0
	s_wait_kmcnt 0x0
	v_lshl_add_u64 v[0:1], v[0:1], 3, s[2:3]
	s_and_saveexec_b32 s1, s0
	s_delay_alu instid0(SALU_CYCLE_1)
	s_xor_b32 s0, exec_lo, s1
	s_cbranch_execz .LBB53_4
; %bb.3:
	global_load_b64 v[4:5], v[0:1], off
	v_mov_b32_e32 v6, v3
	s_wait_loadcnt 0x0
	s_delay_alu instid0(VALU_DEP_1) | instskip(NEXT) | instid1(VALU_DEP_1)
	v_pk_mul_f32 v[6:7], v[6:7], v[4:5] op_sel:[0,1] op_sel_hi:[0,0] neg_lo:[0,1]
	v_pk_fma_f32 v[2:3], v[4:5], v[2:3], v[6:7] op_sel_hi:[1,0,1]
	global_store_b64 v[0:1], v[2:3], off
                                        ; implicit-def: $vgpr0_vgpr1
.LBB53_4:
	s_wait_xcnt 0x0
	s_and_not1_saveexec_b32 s0, s0
	s_cbranch_execz .LBB53_6
; %bb.5:
	v_mov_b64_e32 v[2:3], 0
	global_store_b64 v[0:1], v[2:3], off
.LBB53_6:
	s_endpgm
	.section	.rodata,"a",@progbits
	.p2align	6, 0x0
	.amdhsa_kernel _ZN9rocsparseL12scale_kernelILj256Ei21rocsparse_complex_numIfES2_EEvT0_NS_24const_host_device_scalarIT2_EEPT1_b
		.amdhsa_group_segment_fixed_size 0
		.amdhsa_private_segment_fixed_size 0
		.amdhsa_kernarg_size 28
		.amdhsa_user_sgpr_count 2
		.amdhsa_user_sgpr_dispatch_ptr 0
		.amdhsa_user_sgpr_queue_ptr 0
		.amdhsa_user_sgpr_kernarg_segment_ptr 1
		.amdhsa_user_sgpr_dispatch_id 0
		.amdhsa_user_sgpr_kernarg_preload_length 0
		.amdhsa_user_sgpr_kernarg_preload_offset 0
		.amdhsa_user_sgpr_private_segment_size 0
		.amdhsa_wavefront_size32 1
		.amdhsa_uses_dynamic_stack 0
		.amdhsa_enable_private_segment 0
		.amdhsa_system_sgpr_workgroup_id_x 1
		.amdhsa_system_sgpr_workgroup_id_y 0
		.amdhsa_system_sgpr_workgroup_id_z 0
		.amdhsa_system_sgpr_workgroup_info 0
		.amdhsa_system_vgpr_workitem_id 0
		.amdhsa_next_free_vgpr 8
		.amdhsa_next_free_sgpr 7
		.amdhsa_named_barrier_count 0
		.amdhsa_reserve_vcc 1
		.amdhsa_float_round_mode_32 0
		.amdhsa_float_round_mode_16_64 0
		.amdhsa_float_denorm_mode_32 3
		.amdhsa_float_denorm_mode_16_64 3
		.amdhsa_fp16_overflow 0
		.amdhsa_memory_ordered 1
		.amdhsa_forward_progress 1
		.amdhsa_inst_pref_size 3
		.amdhsa_round_robin_scheduling 0
		.amdhsa_exception_fp_ieee_invalid_op 0
		.amdhsa_exception_fp_denorm_src 0
		.amdhsa_exception_fp_ieee_div_zero 0
		.amdhsa_exception_fp_ieee_overflow 0
		.amdhsa_exception_fp_ieee_underflow 0
		.amdhsa_exception_fp_ieee_inexact 0
		.amdhsa_exception_int_div_zero 0
	.end_amdhsa_kernel
	.section	.text._ZN9rocsparseL12scale_kernelILj256Ei21rocsparse_complex_numIfES2_EEvT0_NS_24const_host_device_scalarIT2_EEPT1_b,"axG",@progbits,_ZN9rocsparseL12scale_kernelILj256Ei21rocsparse_complex_numIfES2_EEvT0_NS_24const_host_device_scalarIT2_EEPT1_b,comdat
.Lfunc_end53:
	.size	_ZN9rocsparseL12scale_kernelILj256Ei21rocsparse_complex_numIfES2_EEvT0_NS_24const_host_device_scalarIT2_EEPT1_b, .Lfunc_end53-_ZN9rocsparseL12scale_kernelILj256Ei21rocsparse_complex_numIfES2_EEvT0_NS_24const_host_device_scalarIT2_EEPT1_b
                                        ; -- End function
	.set _ZN9rocsparseL12scale_kernelILj256Ei21rocsparse_complex_numIfES2_EEvT0_NS_24const_host_device_scalarIT2_EEPT1_b.num_vgpr, 8
	.set _ZN9rocsparseL12scale_kernelILj256Ei21rocsparse_complex_numIfES2_EEvT0_NS_24const_host_device_scalarIT2_EEPT1_b.num_agpr, 0
	.set _ZN9rocsparseL12scale_kernelILj256Ei21rocsparse_complex_numIfES2_EEvT0_NS_24const_host_device_scalarIT2_EEPT1_b.numbered_sgpr, 7
	.set _ZN9rocsparseL12scale_kernelILj256Ei21rocsparse_complex_numIfES2_EEvT0_NS_24const_host_device_scalarIT2_EEPT1_b.num_named_barrier, 0
	.set _ZN9rocsparseL12scale_kernelILj256Ei21rocsparse_complex_numIfES2_EEvT0_NS_24const_host_device_scalarIT2_EEPT1_b.private_seg_size, 0
	.set _ZN9rocsparseL12scale_kernelILj256Ei21rocsparse_complex_numIfES2_EEvT0_NS_24const_host_device_scalarIT2_EEPT1_b.uses_vcc, 1
	.set _ZN9rocsparseL12scale_kernelILj256Ei21rocsparse_complex_numIfES2_EEvT0_NS_24const_host_device_scalarIT2_EEPT1_b.uses_flat_scratch, 0
	.set _ZN9rocsparseL12scale_kernelILj256Ei21rocsparse_complex_numIfES2_EEvT0_NS_24const_host_device_scalarIT2_EEPT1_b.has_dyn_sized_stack, 0
	.set _ZN9rocsparseL12scale_kernelILj256Ei21rocsparse_complex_numIfES2_EEvT0_NS_24const_host_device_scalarIT2_EEPT1_b.has_recursion, 0
	.set _ZN9rocsparseL12scale_kernelILj256Ei21rocsparse_complex_numIfES2_EEvT0_NS_24const_host_device_scalarIT2_EEPT1_b.has_indirect_call, 0
	.section	.AMDGPU.csdata,"",@progbits
; Kernel info:
; codeLenInByte = 308
; TotalNumSgprs: 9
; NumVgprs: 8
; ScratchSize: 0
; MemoryBound: 0
; FloatMode: 240
; IeeeMode: 1
; LDSByteSize: 0 bytes/workgroup (compile time only)
; SGPRBlocks: 0
; VGPRBlocks: 0
; NumSGPRsForWavesPerEU: 9
; NumVGPRsForWavesPerEU: 8
; NamedBarCnt: 0
; Occupancy: 16
; WaveLimiterHint : 0
; COMPUTE_PGM_RSRC2:SCRATCH_EN: 0
; COMPUTE_PGM_RSRC2:USER_SGPR: 2
; COMPUTE_PGM_RSRC2:TRAP_HANDLER: 0
; COMPUTE_PGM_RSRC2:TGID_X_EN: 1
; COMPUTE_PGM_RSRC2:TGID_Y_EN: 0
; COMPUTE_PGM_RSRC2:TGID_Z_EN: 0
; COMPUTE_PGM_RSRC2:TIDIG_COMP_CNT: 0
	.section	.text._ZN9rocsparseL12scale_kernelILj256Ei21rocsparse_complex_numIdES2_EEvT0_NS_24const_host_device_scalarIT2_EEPT1_b,"axG",@progbits,_ZN9rocsparseL12scale_kernelILj256Ei21rocsparse_complex_numIdES2_EEvT0_NS_24const_host_device_scalarIT2_EEPT1_b,comdat
	.globl	_ZN9rocsparseL12scale_kernelILj256Ei21rocsparse_complex_numIdES2_EEvT0_NS_24const_host_device_scalarIT2_EEPT1_b ; -- Begin function _ZN9rocsparseL12scale_kernelILj256Ei21rocsparse_complex_numIdES2_EEvT0_NS_24const_host_device_scalarIT2_EEPT1_b
	.p2align	8
	.type	_ZN9rocsparseL12scale_kernelILj256Ei21rocsparse_complex_numIdES2_EEvT0_NS_24const_host_device_scalarIT2_EEPT1_b,@function
_ZN9rocsparseL12scale_kernelILj256Ei21rocsparse_complex_numIdES2_EEvT0_NS_24const_host_device_scalarIT2_EEPT1_b: ; @_ZN9rocsparseL12scale_kernelILj256Ei21rocsparse_complex_numIdES2_EEvT0_NS_24const_host_device_scalarIT2_EEPT1_b
; %bb.0:
	s_clause 0x1
	s_load_b32 s6, s[0:1], 0x20
	s_load_b64 s[2:3], s[0:1], 0x8
	v_mov_b32_e32 v1, 0
	s_add_nc_u64 s[4:5], s[0:1], 8
	s_wait_kmcnt 0x0
	s_bitcmp1_b32 s6, 0
	s_cselect_b32 s3, s5, s3
	s_cselect_b32 s2, s4, s2
	flat_load_b128 v[2:5], v1, s[2:3]
	s_wait_loadcnt_dscnt 0x0
	v_cmp_neq_f64_e32 vcc_lo, 1.0, v[2:3]
	v_cmp_neq_f64_e64 s2, 0, v[4:5]
	s_or_b32 s2, vcc_lo, s2
	s_delay_alu instid0(SALU_CYCLE_1)
	s_and_saveexec_b32 s3, s2
	s_cbranch_execz .LBB54_5
; %bb.1:
	s_load_b32 s2, s[0:1], 0x0
	s_bfe_u32 s3, ttmp6, 0x4000c
	s_and_b32 s4, ttmp6, 15
	s_add_co_i32 s3, s3, 1
	s_getreg_b32 s5, hwreg(HW_REG_IB_STS2, 6, 4)
	s_mul_i32 s3, ttmp9, s3
	s_delay_alu instid0(SALU_CYCLE_1) | instskip(SKIP_2) | instid1(SALU_CYCLE_1)
	s_add_co_i32 s4, s4, s3
	s_cmp_eq_u32 s5, 0
	s_cselect_b32 s3, ttmp9, s4
	v_lshl_or_b32 v0, s3, 8, v0
	s_wait_kmcnt 0x0
	s_delay_alu instid0(VALU_DEP_1)
	v_cmp_gt_i32_e32 vcc_lo, s2, v0
	s_and_b32 exec_lo, exec_lo, vcc_lo
	s_cbranch_execz .LBB54_5
; %bb.2:
	v_cmp_neq_f64_e32 vcc_lo, 0, v[2:3]
	v_cmp_neq_f64_e64 s2, 0, v[4:5]
	s_load_b64 s[0:1], s[0:1], 0x18
	v_ashrrev_i32_e32 v1, 31, v0
	v_mov_b64_e32 v[6:7], 0
	v_mov_b64_e32 v[8:9], 0
	s_wait_kmcnt 0x0
	s_delay_alu instid0(VALU_DEP_3) | instskip(SKIP_1) | instid1(SALU_CYCLE_1)
	v_lshl_add_u64 v[0:1], v[0:1], 4, s[0:1]
	s_or_b32 s1, vcc_lo, s2
	s_and_saveexec_b32 s0, s1
	s_cbranch_execz .LBB54_4
; %bb.3:
	global_load_b128 v[10:13], v[0:1], off
	s_wait_loadcnt 0x0
	v_mul_f64_e64 v[6:7], v[4:5], -v[12:13]
	v_mul_f64_e32 v[8:9], v[4:5], v[10:11]
	s_delay_alu instid0(VALU_DEP_2) | instskip(NEXT) | instid1(VALU_DEP_2)
	v_fmac_f64_e32 v[6:7], v[10:11], v[2:3]
	v_fmac_f64_e32 v[8:9], v[12:13], v[2:3]
.LBB54_4:
	s_or_b32 exec_lo, exec_lo, s0
	global_store_b128 v[0:1], v[6:9], off
.LBB54_5:
	s_endpgm
	.section	.rodata,"a",@progbits
	.p2align	6, 0x0
	.amdhsa_kernel _ZN9rocsparseL12scale_kernelILj256Ei21rocsparse_complex_numIdES2_EEvT0_NS_24const_host_device_scalarIT2_EEPT1_b
		.amdhsa_group_segment_fixed_size 0
		.amdhsa_private_segment_fixed_size 0
		.amdhsa_kernarg_size 36
		.amdhsa_user_sgpr_count 2
		.amdhsa_user_sgpr_dispatch_ptr 0
		.amdhsa_user_sgpr_queue_ptr 0
		.amdhsa_user_sgpr_kernarg_segment_ptr 1
		.amdhsa_user_sgpr_dispatch_id 0
		.amdhsa_user_sgpr_kernarg_preload_length 0
		.amdhsa_user_sgpr_kernarg_preload_offset 0
		.amdhsa_user_sgpr_private_segment_size 0
		.amdhsa_wavefront_size32 1
		.amdhsa_uses_dynamic_stack 0
		.amdhsa_enable_private_segment 0
		.amdhsa_system_sgpr_workgroup_id_x 1
		.amdhsa_system_sgpr_workgroup_id_y 0
		.amdhsa_system_sgpr_workgroup_id_z 0
		.amdhsa_system_sgpr_workgroup_info 0
		.amdhsa_system_vgpr_workitem_id 0
		.amdhsa_next_free_vgpr 14
		.amdhsa_next_free_sgpr 7
		.amdhsa_named_barrier_count 0
		.amdhsa_reserve_vcc 1
		.amdhsa_float_round_mode_32 0
		.amdhsa_float_round_mode_16_64 0
		.amdhsa_float_denorm_mode_32 3
		.amdhsa_float_denorm_mode_16_64 3
		.amdhsa_fp16_overflow 0
		.amdhsa_memory_ordered 1
		.amdhsa_forward_progress 1
		.amdhsa_inst_pref_size 3
		.amdhsa_round_robin_scheduling 0
		.amdhsa_exception_fp_ieee_invalid_op 0
		.amdhsa_exception_fp_denorm_src 0
		.amdhsa_exception_fp_ieee_div_zero 0
		.amdhsa_exception_fp_ieee_overflow 0
		.amdhsa_exception_fp_ieee_underflow 0
		.amdhsa_exception_fp_ieee_inexact 0
		.amdhsa_exception_int_div_zero 0
	.end_amdhsa_kernel
	.section	.text._ZN9rocsparseL12scale_kernelILj256Ei21rocsparse_complex_numIdES2_EEvT0_NS_24const_host_device_scalarIT2_EEPT1_b,"axG",@progbits,_ZN9rocsparseL12scale_kernelILj256Ei21rocsparse_complex_numIdES2_EEvT0_NS_24const_host_device_scalarIT2_EEPT1_b,comdat
.Lfunc_end54:
	.size	_ZN9rocsparseL12scale_kernelILj256Ei21rocsparse_complex_numIdES2_EEvT0_NS_24const_host_device_scalarIT2_EEPT1_b, .Lfunc_end54-_ZN9rocsparseL12scale_kernelILj256Ei21rocsparse_complex_numIdES2_EEvT0_NS_24const_host_device_scalarIT2_EEPT1_b
                                        ; -- End function
	.set _ZN9rocsparseL12scale_kernelILj256Ei21rocsparse_complex_numIdES2_EEvT0_NS_24const_host_device_scalarIT2_EEPT1_b.num_vgpr, 14
	.set _ZN9rocsparseL12scale_kernelILj256Ei21rocsparse_complex_numIdES2_EEvT0_NS_24const_host_device_scalarIT2_EEPT1_b.num_agpr, 0
	.set _ZN9rocsparseL12scale_kernelILj256Ei21rocsparse_complex_numIdES2_EEvT0_NS_24const_host_device_scalarIT2_EEPT1_b.numbered_sgpr, 7
	.set _ZN9rocsparseL12scale_kernelILj256Ei21rocsparse_complex_numIdES2_EEvT0_NS_24const_host_device_scalarIT2_EEPT1_b.num_named_barrier, 0
	.set _ZN9rocsparseL12scale_kernelILj256Ei21rocsparse_complex_numIdES2_EEvT0_NS_24const_host_device_scalarIT2_EEPT1_b.private_seg_size, 0
	.set _ZN9rocsparseL12scale_kernelILj256Ei21rocsparse_complex_numIdES2_EEvT0_NS_24const_host_device_scalarIT2_EEPT1_b.uses_vcc, 1
	.set _ZN9rocsparseL12scale_kernelILj256Ei21rocsparse_complex_numIdES2_EEvT0_NS_24const_host_device_scalarIT2_EEPT1_b.uses_flat_scratch, 0
	.set _ZN9rocsparseL12scale_kernelILj256Ei21rocsparse_complex_numIdES2_EEvT0_NS_24const_host_device_scalarIT2_EEPT1_b.has_dyn_sized_stack, 0
	.set _ZN9rocsparseL12scale_kernelILj256Ei21rocsparse_complex_numIdES2_EEvT0_NS_24const_host_device_scalarIT2_EEPT1_b.has_recursion, 0
	.set _ZN9rocsparseL12scale_kernelILj256Ei21rocsparse_complex_numIdES2_EEvT0_NS_24const_host_device_scalarIT2_EEPT1_b.has_indirect_call, 0
	.section	.AMDGPU.csdata,"",@progbits
; Kernel info:
; codeLenInByte = 284
; TotalNumSgprs: 9
; NumVgprs: 14
; ScratchSize: 0
; MemoryBound: 0
; FloatMode: 240
; IeeeMode: 1
; LDSByteSize: 0 bytes/workgroup (compile time only)
; SGPRBlocks: 0
; VGPRBlocks: 0
; NumSGPRsForWavesPerEU: 9
; NumVGPRsForWavesPerEU: 14
; NamedBarCnt: 0
; Occupancy: 16
; WaveLimiterHint : 0
; COMPUTE_PGM_RSRC2:SCRATCH_EN: 0
; COMPUTE_PGM_RSRC2:USER_SGPR: 2
; COMPUTE_PGM_RSRC2:TRAP_HANDLER: 0
; COMPUTE_PGM_RSRC2:TGID_X_EN: 1
; COMPUTE_PGM_RSRC2:TGID_Y_EN: 0
; COMPUTE_PGM_RSRC2:TGID_Z_EN: 0
; COMPUTE_PGM_RSRC2:TIDIG_COMP_CNT: 0
	.section	.text._ZN9rocsparseL12scale_kernelILj256El18rocsparse_bfloat16fEEvT0_NS_24const_host_device_scalarIT2_EEPT1_b,"axG",@progbits,_ZN9rocsparseL12scale_kernelILj256El18rocsparse_bfloat16fEEvT0_NS_24const_host_device_scalarIT2_EEPT1_b,comdat
	.globl	_ZN9rocsparseL12scale_kernelILj256El18rocsparse_bfloat16fEEvT0_NS_24const_host_device_scalarIT2_EEPT1_b ; -- Begin function _ZN9rocsparseL12scale_kernelILj256El18rocsparse_bfloat16fEEvT0_NS_24const_host_device_scalarIT2_EEPT1_b
	.p2align	8
	.type	_ZN9rocsparseL12scale_kernelILj256El18rocsparse_bfloat16fEEvT0_NS_24const_host_device_scalarIT2_EEPT1_b,@function
_ZN9rocsparseL12scale_kernelILj256El18rocsparse_bfloat16fEEvT0_NS_24const_host_device_scalarIT2_EEPT1_b: ; @_ZN9rocsparseL12scale_kernelILj256El18rocsparse_bfloat16fEEvT0_NS_24const_host_device_scalarIT2_EEPT1_b
; %bb.0:
	s_clause 0x1
	s_load_b32 s2, s[0:1], 0x18
	s_load_b128 s[4:7], s[0:1], 0x0
	s_wait_kmcnt 0x0
	s_bitcmp1_b32 s2, 0
	s_cselect_b32 s2, -1, 0
	s_delay_alu instid0(SALU_CYCLE_1)
	s_and_b32 vcc_lo, exec_lo, s2
	s_cbranch_vccnz .LBB55_2
; %bb.1:
	s_load_b32 s6, s[6:7], 0x0
.LBB55_2:
	s_wait_kmcnt 0x0
	s_cmp_neq_f32 s6, 1.0
	s_getreg_b32 s8, hwreg(HW_REG_IB_STS2, 6, 4)
	v_mov_b32_e32 v1, 0
	s_cselect_b32 s2, -1, 0
	s_bfe_u32 s3, ttmp6, 0x4000c
	s_and_b32 s7, ttmp6, 15
	s_add_co_i32 s3, s3, 1
	s_delay_alu instid0(SALU_CYCLE_1) | instskip(NEXT) | instid1(SALU_CYCLE_1)
	s_mul_i32 s3, ttmp9, s3
	s_add_co_i32 s7, s7, s3
	s_cmp_eq_u32 s8, 0
	s_cselect_b32 s3, ttmp9, s7
	s_cmp_eq_f32 s6, 0
	v_lshl_or_b32 v0, s3, 8, v0
	s_cselect_b32 s3, -1, 0
	s_delay_alu instid0(VALU_DEP_1) | instskip(SKIP_1) | instid1(SALU_CYCLE_1)
	v_cmp_gt_i64_e32 vcc_lo, s[4:5], v[0:1]
	s_and_b32 s3, vcc_lo, s3
	s_and_b32 s2, s2, s3
	s_delay_alu instid0(SALU_CYCLE_1)
	s_and_saveexec_b32 s3, s2
	s_cbranch_execz .LBB55_4
; %bb.3:
	s_load_b64 s[0:1], s[0:1], 0x10
	s_wait_kmcnt 0x0
	v_lshl_add_u64 v[2:3], v[0:1], 1, s[0:1]
	global_store_b16 v[2:3], v1, off
.LBB55_4:
	s_endpgm
	.section	.rodata,"a",@progbits
	.p2align	6, 0x0
	.amdhsa_kernel _ZN9rocsparseL12scale_kernelILj256El18rocsparse_bfloat16fEEvT0_NS_24const_host_device_scalarIT2_EEPT1_b
		.amdhsa_group_segment_fixed_size 0
		.amdhsa_private_segment_fixed_size 0
		.amdhsa_kernarg_size 28
		.amdhsa_user_sgpr_count 2
		.amdhsa_user_sgpr_dispatch_ptr 0
		.amdhsa_user_sgpr_queue_ptr 0
		.amdhsa_user_sgpr_kernarg_segment_ptr 1
		.amdhsa_user_sgpr_dispatch_id 0
		.amdhsa_user_sgpr_kernarg_preload_length 0
		.amdhsa_user_sgpr_kernarg_preload_offset 0
		.amdhsa_user_sgpr_private_segment_size 0
		.amdhsa_wavefront_size32 1
		.amdhsa_uses_dynamic_stack 0
		.amdhsa_enable_private_segment 0
		.amdhsa_system_sgpr_workgroup_id_x 1
		.amdhsa_system_sgpr_workgroup_id_y 0
		.amdhsa_system_sgpr_workgroup_id_z 0
		.amdhsa_system_sgpr_workgroup_info 0
		.amdhsa_system_vgpr_workitem_id 0
		.amdhsa_next_free_vgpr 4
		.amdhsa_next_free_sgpr 9
		.amdhsa_named_barrier_count 0
		.amdhsa_reserve_vcc 1
		.amdhsa_float_round_mode_32 0
		.amdhsa_float_round_mode_16_64 0
		.amdhsa_float_denorm_mode_32 3
		.amdhsa_float_denorm_mode_16_64 3
		.amdhsa_fp16_overflow 0
		.amdhsa_memory_ordered 1
		.amdhsa_forward_progress 1
		.amdhsa_inst_pref_size 2
		.amdhsa_round_robin_scheduling 0
		.amdhsa_exception_fp_ieee_invalid_op 0
		.amdhsa_exception_fp_denorm_src 0
		.amdhsa_exception_fp_ieee_div_zero 0
		.amdhsa_exception_fp_ieee_overflow 0
		.amdhsa_exception_fp_ieee_underflow 0
		.amdhsa_exception_fp_ieee_inexact 0
		.amdhsa_exception_int_div_zero 0
	.end_amdhsa_kernel
	.section	.text._ZN9rocsparseL12scale_kernelILj256El18rocsparse_bfloat16fEEvT0_NS_24const_host_device_scalarIT2_EEPT1_b,"axG",@progbits,_ZN9rocsparseL12scale_kernelILj256El18rocsparse_bfloat16fEEvT0_NS_24const_host_device_scalarIT2_EEPT1_b,comdat
.Lfunc_end55:
	.size	_ZN9rocsparseL12scale_kernelILj256El18rocsparse_bfloat16fEEvT0_NS_24const_host_device_scalarIT2_EEPT1_b, .Lfunc_end55-_ZN9rocsparseL12scale_kernelILj256El18rocsparse_bfloat16fEEvT0_NS_24const_host_device_scalarIT2_EEPT1_b
                                        ; -- End function
	.set _ZN9rocsparseL12scale_kernelILj256El18rocsparse_bfloat16fEEvT0_NS_24const_host_device_scalarIT2_EEPT1_b.num_vgpr, 4
	.set _ZN9rocsparseL12scale_kernelILj256El18rocsparse_bfloat16fEEvT0_NS_24const_host_device_scalarIT2_EEPT1_b.num_agpr, 0
	.set _ZN9rocsparseL12scale_kernelILj256El18rocsparse_bfloat16fEEvT0_NS_24const_host_device_scalarIT2_EEPT1_b.numbered_sgpr, 9
	.set _ZN9rocsparseL12scale_kernelILj256El18rocsparse_bfloat16fEEvT0_NS_24const_host_device_scalarIT2_EEPT1_b.num_named_barrier, 0
	.set _ZN9rocsparseL12scale_kernelILj256El18rocsparse_bfloat16fEEvT0_NS_24const_host_device_scalarIT2_EEPT1_b.private_seg_size, 0
	.set _ZN9rocsparseL12scale_kernelILj256El18rocsparse_bfloat16fEEvT0_NS_24const_host_device_scalarIT2_EEPT1_b.uses_vcc, 1
	.set _ZN9rocsparseL12scale_kernelILj256El18rocsparse_bfloat16fEEvT0_NS_24const_host_device_scalarIT2_EEPT1_b.uses_flat_scratch, 0
	.set _ZN9rocsparseL12scale_kernelILj256El18rocsparse_bfloat16fEEvT0_NS_24const_host_device_scalarIT2_EEPT1_b.has_dyn_sized_stack, 0
	.set _ZN9rocsparseL12scale_kernelILj256El18rocsparse_bfloat16fEEvT0_NS_24const_host_device_scalarIT2_EEPT1_b.has_recursion, 0
	.set _ZN9rocsparseL12scale_kernelILj256El18rocsparse_bfloat16fEEvT0_NS_24const_host_device_scalarIT2_EEPT1_b.has_indirect_call, 0
	.section	.AMDGPU.csdata,"",@progbits
; Kernel info:
; codeLenInByte = 188
; TotalNumSgprs: 11
; NumVgprs: 4
; ScratchSize: 0
; MemoryBound: 0
; FloatMode: 240
; IeeeMode: 1
; LDSByteSize: 0 bytes/workgroup (compile time only)
; SGPRBlocks: 0
; VGPRBlocks: 0
; NumSGPRsForWavesPerEU: 11
; NumVGPRsForWavesPerEU: 4
; NamedBarCnt: 0
; Occupancy: 16
; WaveLimiterHint : 0
; COMPUTE_PGM_RSRC2:SCRATCH_EN: 0
; COMPUTE_PGM_RSRC2:USER_SGPR: 2
; COMPUTE_PGM_RSRC2:TRAP_HANDLER: 0
; COMPUTE_PGM_RSRC2:TGID_X_EN: 1
; COMPUTE_PGM_RSRC2:TGID_Y_EN: 0
; COMPUTE_PGM_RSRC2:TGID_Z_EN: 0
; COMPUTE_PGM_RSRC2:TIDIG_COMP_CNT: 0
	.section	.text._ZN9rocsparseL12scale_kernelILj256ElDF16_fEEvT0_NS_24const_host_device_scalarIT2_EEPT1_b,"axG",@progbits,_ZN9rocsparseL12scale_kernelILj256ElDF16_fEEvT0_NS_24const_host_device_scalarIT2_EEPT1_b,comdat
	.globl	_ZN9rocsparseL12scale_kernelILj256ElDF16_fEEvT0_NS_24const_host_device_scalarIT2_EEPT1_b ; -- Begin function _ZN9rocsparseL12scale_kernelILj256ElDF16_fEEvT0_NS_24const_host_device_scalarIT2_EEPT1_b
	.p2align	8
	.type	_ZN9rocsparseL12scale_kernelILj256ElDF16_fEEvT0_NS_24const_host_device_scalarIT2_EEPT1_b,@function
_ZN9rocsparseL12scale_kernelILj256ElDF16_fEEvT0_NS_24const_host_device_scalarIT2_EEPT1_b: ; @_ZN9rocsparseL12scale_kernelILj256ElDF16_fEEvT0_NS_24const_host_device_scalarIT2_EEPT1_b
; %bb.0:
	s_clause 0x1
	s_load_b32 s2, s[0:1], 0x18
	s_load_b128 s[4:7], s[0:1], 0x0
	s_wait_kmcnt 0x0
	s_bitcmp1_b32 s2, 0
	s_cselect_b32 s2, -1, 0
	s_delay_alu instid0(SALU_CYCLE_1)
	s_and_b32 vcc_lo, exec_lo, s2
	s_cbranch_vccnz .LBB56_2
; %bb.1:
	s_load_b32 s6, s[6:7], 0x0
.LBB56_2:
	s_wait_kmcnt 0x0
	s_cmp_eq_f32 s6, 1.0
	s_cbranch_scc1 .LBB56_7
; %bb.3:
	s_bfe_u32 s2, ttmp6, 0x4000c
	s_and_b32 s3, ttmp6, 15
	s_add_co_i32 s2, s2, 1
	s_getreg_b32 s7, hwreg(HW_REG_IB_STS2, 6, 4)
	s_mul_i32 s2, ttmp9, s2
	v_mov_b32_e32 v1, 0
	s_add_co_i32 s3, s3, s2
	s_cmp_eq_u32 s7, 0
	s_cselect_b32 s2, ttmp9, s3
	s_delay_alu instid0(SALU_CYCLE_1) | instskip(SKIP_1) | instid1(VALU_DEP_1)
	v_lshl_or_b32 v0, s2, 8, v0
	s_mov_b32 s2, exec_lo
	v_cmpx_gt_i64_e64 s[4:5], v[0:1]
	s_cbranch_execz .LBB56_7
; %bb.4:
	s_load_b64 s[0:1], s[0:1], 0x10
	s_cmp_eq_f32 s6, 0
	s_wait_kmcnt 0x0
	v_lshl_add_u64 v[2:3], v[0:1], 1, s[0:1]
	s_cbranch_scc1 .LBB56_6
; %bb.5:
	global_load_u16 v0, v[2:3], off
	s_wait_loadcnt 0x0
	v_fma_mixlo_f16 v1, s6, v0, 0 op_sel_hi:[0,1,0]
.LBB56_6:
	global_store_b16 v[2:3], v1, off
.LBB56_7:
	s_endpgm
	.section	.rodata,"a",@progbits
	.p2align	6, 0x0
	.amdhsa_kernel _ZN9rocsparseL12scale_kernelILj256ElDF16_fEEvT0_NS_24const_host_device_scalarIT2_EEPT1_b
		.amdhsa_group_segment_fixed_size 0
		.amdhsa_private_segment_fixed_size 0
		.amdhsa_kernarg_size 28
		.amdhsa_user_sgpr_count 2
		.amdhsa_user_sgpr_dispatch_ptr 0
		.amdhsa_user_sgpr_queue_ptr 0
		.amdhsa_user_sgpr_kernarg_segment_ptr 1
		.amdhsa_user_sgpr_dispatch_id 0
		.amdhsa_user_sgpr_kernarg_preload_length 0
		.amdhsa_user_sgpr_kernarg_preload_offset 0
		.amdhsa_user_sgpr_private_segment_size 0
		.amdhsa_wavefront_size32 1
		.amdhsa_uses_dynamic_stack 0
		.amdhsa_enable_private_segment 0
		.amdhsa_system_sgpr_workgroup_id_x 1
		.amdhsa_system_sgpr_workgroup_id_y 0
		.amdhsa_system_sgpr_workgroup_id_z 0
		.amdhsa_system_sgpr_workgroup_info 0
		.amdhsa_system_vgpr_workitem_id 0
		.amdhsa_next_free_vgpr 4
		.amdhsa_next_free_sgpr 8
		.amdhsa_named_barrier_count 0
		.amdhsa_reserve_vcc 1
		.amdhsa_float_round_mode_32 0
		.amdhsa_float_round_mode_16_64 0
		.amdhsa_float_denorm_mode_32 3
		.amdhsa_float_denorm_mode_16_64 3
		.amdhsa_fp16_overflow 0
		.amdhsa_memory_ordered 1
		.amdhsa_forward_progress 1
		.amdhsa_inst_pref_size 2
		.amdhsa_round_robin_scheduling 0
		.amdhsa_exception_fp_ieee_invalid_op 0
		.amdhsa_exception_fp_denorm_src 0
		.amdhsa_exception_fp_ieee_div_zero 0
		.amdhsa_exception_fp_ieee_overflow 0
		.amdhsa_exception_fp_ieee_underflow 0
		.amdhsa_exception_fp_ieee_inexact 0
		.amdhsa_exception_int_div_zero 0
	.end_amdhsa_kernel
	.section	.text._ZN9rocsparseL12scale_kernelILj256ElDF16_fEEvT0_NS_24const_host_device_scalarIT2_EEPT1_b,"axG",@progbits,_ZN9rocsparseL12scale_kernelILj256ElDF16_fEEvT0_NS_24const_host_device_scalarIT2_EEPT1_b,comdat
.Lfunc_end56:
	.size	_ZN9rocsparseL12scale_kernelILj256ElDF16_fEEvT0_NS_24const_host_device_scalarIT2_EEPT1_b, .Lfunc_end56-_ZN9rocsparseL12scale_kernelILj256ElDF16_fEEvT0_NS_24const_host_device_scalarIT2_EEPT1_b
                                        ; -- End function
	.set _ZN9rocsparseL12scale_kernelILj256ElDF16_fEEvT0_NS_24const_host_device_scalarIT2_EEPT1_b.num_vgpr, 4
	.set _ZN9rocsparseL12scale_kernelILj256ElDF16_fEEvT0_NS_24const_host_device_scalarIT2_EEPT1_b.num_agpr, 0
	.set _ZN9rocsparseL12scale_kernelILj256ElDF16_fEEvT0_NS_24const_host_device_scalarIT2_EEPT1_b.numbered_sgpr, 8
	.set _ZN9rocsparseL12scale_kernelILj256ElDF16_fEEvT0_NS_24const_host_device_scalarIT2_EEPT1_b.num_named_barrier, 0
	.set _ZN9rocsparseL12scale_kernelILj256ElDF16_fEEvT0_NS_24const_host_device_scalarIT2_EEPT1_b.private_seg_size, 0
	.set _ZN9rocsparseL12scale_kernelILj256ElDF16_fEEvT0_NS_24const_host_device_scalarIT2_EEPT1_b.uses_vcc, 1
	.set _ZN9rocsparseL12scale_kernelILj256ElDF16_fEEvT0_NS_24const_host_device_scalarIT2_EEPT1_b.uses_flat_scratch, 0
	.set _ZN9rocsparseL12scale_kernelILj256ElDF16_fEEvT0_NS_24const_host_device_scalarIT2_EEPT1_b.has_dyn_sized_stack, 0
	.set _ZN9rocsparseL12scale_kernelILj256ElDF16_fEEvT0_NS_24const_host_device_scalarIT2_EEPT1_b.has_recursion, 0
	.set _ZN9rocsparseL12scale_kernelILj256ElDF16_fEEvT0_NS_24const_host_device_scalarIT2_EEPT1_b.has_indirect_call, 0
	.section	.AMDGPU.csdata,"",@progbits
; Kernel info:
; codeLenInByte = 200
; TotalNumSgprs: 10
; NumVgprs: 4
; ScratchSize: 0
; MemoryBound: 0
; FloatMode: 240
; IeeeMode: 1
; LDSByteSize: 0 bytes/workgroup (compile time only)
; SGPRBlocks: 0
; VGPRBlocks: 0
; NumSGPRsForWavesPerEU: 10
; NumVGPRsForWavesPerEU: 4
; NamedBarCnt: 0
; Occupancy: 16
; WaveLimiterHint : 0
; COMPUTE_PGM_RSRC2:SCRATCH_EN: 0
; COMPUTE_PGM_RSRC2:USER_SGPR: 2
; COMPUTE_PGM_RSRC2:TRAP_HANDLER: 0
; COMPUTE_PGM_RSRC2:TGID_X_EN: 1
; COMPUTE_PGM_RSRC2:TGID_Y_EN: 0
; COMPUTE_PGM_RSRC2:TGID_Z_EN: 0
; COMPUTE_PGM_RSRC2:TIDIG_COMP_CNT: 0
	.section	.text._ZN9rocsparseL12scale_kernelILj256EliiEEvT0_NS_24const_host_device_scalarIT2_EEPT1_b,"axG",@progbits,_ZN9rocsparseL12scale_kernelILj256EliiEEvT0_NS_24const_host_device_scalarIT2_EEPT1_b,comdat
	.globl	_ZN9rocsparseL12scale_kernelILj256EliiEEvT0_NS_24const_host_device_scalarIT2_EEPT1_b ; -- Begin function _ZN9rocsparseL12scale_kernelILj256EliiEEvT0_NS_24const_host_device_scalarIT2_EEPT1_b
	.p2align	8
	.type	_ZN9rocsparseL12scale_kernelILj256EliiEEvT0_NS_24const_host_device_scalarIT2_EEPT1_b,@function
_ZN9rocsparseL12scale_kernelILj256EliiEEvT0_NS_24const_host_device_scalarIT2_EEPT1_b: ; @_ZN9rocsparseL12scale_kernelILj256EliiEEvT0_NS_24const_host_device_scalarIT2_EEPT1_b
; %bb.0:
	s_clause 0x1
	s_load_b32 s2, s[0:1], 0x18
	s_load_b128 s[4:7], s[0:1], 0x0
	s_mov_b32 s3, 0
	s_wait_kmcnt 0x0
	s_bitcmp0_b32 s2, 0
	s_cbranch_scc0 .LBB57_2
; %bb.1:
	s_load_b32 s2, s[6:7], 0x0
	s_and_not1_b32 vcc_lo, exec_lo, s3
	s_cbranch_vccz .LBB57_3
	s_branch .LBB57_4
.LBB57_2:
                                        ; implicit-def: $sgpr2
.LBB57_3:
	s_wait_kmcnt 0x0
	s_mov_b32 s2, s6
.LBB57_4:
	s_wait_kmcnt 0x0
	s_cmp_eq_u32 s2, 1
	s_cbranch_scc1 .LBB57_10
; %bb.5:
	s_bfe_u32 s3, ttmp6, 0x4000c
	s_and_b32 s6, ttmp6, 15
	s_add_co_i32 s3, s3, 1
	s_getreg_b32 s7, hwreg(HW_REG_IB_STS2, 6, 4)
	s_mul_i32 s3, ttmp9, s3
	v_mov_b32_e32 v1, 0
	s_add_co_i32 s6, s6, s3
	s_cmp_eq_u32 s7, 0
	s_cselect_b32 s3, ttmp9, s6
	s_delay_alu instid0(SALU_CYCLE_1) | instskip(SKIP_1) | instid1(VALU_DEP_1)
	v_lshl_or_b32 v0, s3, 8, v0
	s_mov_b32 s3, exec_lo
	v_cmpx_gt_i64_e64 s[4:5], v[0:1]
	s_cbranch_execz .LBB57_10
; %bb.6:
	s_load_b64 s[0:1], s[0:1], 0x10
	s_cmp_eq_u32 s2, 0
	s_wait_kmcnt 0x0
	v_lshl_add_u64 v[0:1], v[0:1], 2, s[0:1]
	s_cbranch_scc1 .LBB57_8
; %bb.7:
	global_load_b32 v2, v[0:1], off
	s_wait_loadcnt 0x0
	v_mul_lo_u32 v2, v2, s2
	s_branch .LBB57_9
.LBB57_8:
	v_mov_b32_e32 v2, 0
.LBB57_9:
	global_store_b32 v[0:1], v2, off
.LBB57_10:
	s_endpgm
	.section	.rodata,"a",@progbits
	.p2align	6, 0x0
	.amdhsa_kernel _ZN9rocsparseL12scale_kernelILj256EliiEEvT0_NS_24const_host_device_scalarIT2_EEPT1_b
		.amdhsa_group_segment_fixed_size 0
		.amdhsa_private_segment_fixed_size 0
		.amdhsa_kernarg_size 28
		.amdhsa_user_sgpr_count 2
		.amdhsa_user_sgpr_dispatch_ptr 0
		.amdhsa_user_sgpr_queue_ptr 0
		.amdhsa_user_sgpr_kernarg_segment_ptr 1
		.amdhsa_user_sgpr_dispatch_id 0
		.amdhsa_user_sgpr_kernarg_preload_length 0
		.amdhsa_user_sgpr_kernarg_preload_offset 0
		.amdhsa_user_sgpr_private_segment_size 0
		.amdhsa_wavefront_size32 1
		.amdhsa_uses_dynamic_stack 0
		.amdhsa_enable_private_segment 0
		.amdhsa_system_sgpr_workgroup_id_x 1
		.amdhsa_system_sgpr_workgroup_id_y 0
		.amdhsa_system_sgpr_workgroup_id_z 0
		.amdhsa_system_sgpr_workgroup_info 0
		.amdhsa_system_vgpr_workitem_id 0
		.amdhsa_next_free_vgpr 3
		.amdhsa_next_free_sgpr 8
		.amdhsa_named_barrier_count 0
		.amdhsa_reserve_vcc 1
		.amdhsa_float_round_mode_32 0
		.amdhsa_float_round_mode_16_64 0
		.amdhsa_float_denorm_mode_32 3
		.amdhsa_float_denorm_mode_16_64 3
		.amdhsa_fp16_overflow 0
		.amdhsa_memory_ordered 1
		.amdhsa_forward_progress 1
		.amdhsa_inst_pref_size 2
		.amdhsa_round_robin_scheduling 0
		.amdhsa_exception_fp_ieee_invalid_op 0
		.amdhsa_exception_fp_denorm_src 0
		.amdhsa_exception_fp_ieee_div_zero 0
		.amdhsa_exception_fp_ieee_overflow 0
		.amdhsa_exception_fp_ieee_underflow 0
		.amdhsa_exception_fp_ieee_inexact 0
		.amdhsa_exception_int_div_zero 0
	.end_amdhsa_kernel
	.section	.text._ZN9rocsparseL12scale_kernelILj256EliiEEvT0_NS_24const_host_device_scalarIT2_EEPT1_b,"axG",@progbits,_ZN9rocsparseL12scale_kernelILj256EliiEEvT0_NS_24const_host_device_scalarIT2_EEPT1_b,comdat
.Lfunc_end57:
	.size	_ZN9rocsparseL12scale_kernelILj256EliiEEvT0_NS_24const_host_device_scalarIT2_EEPT1_b, .Lfunc_end57-_ZN9rocsparseL12scale_kernelILj256EliiEEvT0_NS_24const_host_device_scalarIT2_EEPT1_b
                                        ; -- End function
	.set _ZN9rocsparseL12scale_kernelILj256EliiEEvT0_NS_24const_host_device_scalarIT2_EEPT1_b.num_vgpr, 3
	.set _ZN9rocsparseL12scale_kernelILj256EliiEEvT0_NS_24const_host_device_scalarIT2_EEPT1_b.num_agpr, 0
	.set _ZN9rocsparseL12scale_kernelILj256EliiEEvT0_NS_24const_host_device_scalarIT2_EEPT1_b.numbered_sgpr, 8
	.set _ZN9rocsparseL12scale_kernelILj256EliiEEvT0_NS_24const_host_device_scalarIT2_EEPT1_b.num_named_barrier, 0
	.set _ZN9rocsparseL12scale_kernelILj256EliiEEvT0_NS_24const_host_device_scalarIT2_EEPT1_b.private_seg_size, 0
	.set _ZN9rocsparseL12scale_kernelILj256EliiEEvT0_NS_24const_host_device_scalarIT2_EEPT1_b.uses_vcc, 1
	.set _ZN9rocsparseL12scale_kernelILj256EliiEEvT0_NS_24const_host_device_scalarIT2_EEPT1_b.uses_flat_scratch, 0
	.set _ZN9rocsparseL12scale_kernelILj256EliiEEvT0_NS_24const_host_device_scalarIT2_EEPT1_b.has_dyn_sized_stack, 0
	.set _ZN9rocsparseL12scale_kernelILj256EliiEEvT0_NS_24const_host_device_scalarIT2_EEPT1_b.has_recursion, 0
	.set _ZN9rocsparseL12scale_kernelILj256EliiEEvT0_NS_24const_host_device_scalarIT2_EEPT1_b.has_indirect_call, 0
	.section	.AMDGPU.csdata,"",@progbits
; Kernel info:
; codeLenInByte = 220
; TotalNumSgprs: 10
; NumVgprs: 3
; ScratchSize: 0
; MemoryBound: 0
; FloatMode: 240
; IeeeMode: 1
; LDSByteSize: 0 bytes/workgroup (compile time only)
; SGPRBlocks: 0
; VGPRBlocks: 0
; NumSGPRsForWavesPerEU: 10
; NumVGPRsForWavesPerEU: 3
; NamedBarCnt: 0
; Occupancy: 16
; WaveLimiterHint : 0
; COMPUTE_PGM_RSRC2:SCRATCH_EN: 0
; COMPUTE_PGM_RSRC2:USER_SGPR: 2
; COMPUTE_PGM_RSRC2:TRAP_HANDLER: 0
; COMPUTE_PGM_RSRC2:TGID_X_EN: 1
; COMPUTE_PGM_RSRC2:TGID_Y_EN: 0
; COMPUTE_PGM_RSRC2:TGID_Z_EN: 0
; COMPUTE_PGM_RSRC2:TIDIG_COMP_CNT: 0
	.section	.text._ZN9rocsparseL12scale_kernelILj256ElffEEvT0_NS_24const_host_device_scalarIT2_EEPT1_b,"axG",@progbits,_ZN9rocsparseL12scale_kernelILj256ElffEEvT0_NS_24const_host_device_scalarIT2_EEPT1_b,comdat
	.globl	_ZN9rocsparseL12scale_kernelILj256ElffEEvT0_NS_24const_host_device_scalarIT2_EEPT1_b ; -- Begin function _ZN9rocsparseL12scale_kernelILj256ElffEEvT0_NS_24const_host_device_scalarIT2_EEPT1_b
	.p2align	8
	.type	_ZN9rocsparseL12scale_kernelILj256ElffEEvT0_NS_24const_host_device_scalarIT2_EEPT1_b,@function
_ZN9rocsparseL12scale_kernelILj256ElffEEvT0_NS_24const_host_device_scalarIT2_EEPT1_b: ; @_ZN9rocsparseL12scale_kernelILj256ElffEEvT0_NS_24const_host_device_scalarIT2_EEPT1_b
; %bb.0:
	s_clause 0x1
	s_load_b32 s2, s[0:1], 0x18
	s_load_b128 s[4:7], s[0:1], 0x0
	s_wait_kmcnt 0x0
	s_bitcmp1_b32 s2, 0
	s_cselect_b32 s2, -1, 0
	s_delay_alu instid0(SALU_CYCLE_1)
	s_and_b32 vcc_lo, exec_lo, s2
	s_cbranch_vccnz .LBB58_2
; %bb.1:
	s_load_b32 s6, s[6:7], 0x0
.LBB58_2:
	s_wait_kmcnt 0x0
	s_cmp_eq_f32 s6, 1.0
	s_cbranch_scc1 .LBB58_8
; %bb.3:
	s_bfe_u32 s2, ttmp6, 0x4000c
	s_and_b32 s3, ttmp6, 15
	s_add_co_i32 s2, s2, 1
	s_getreg_b32 s7, hwreg(HW_REG_IB_STS2, 6, 4)
	s_mul_i32 s2, ttmp9, s2
	v_mov_b32_e32 v1, 0
	s_add_co_i32 s3, s3, s2
	s_cmp_eq_u32 s7, 0
	s_cselect_b32 s2, ttmp9, s3
	s_delay_alu instid0(SALU_CYCLE_1) | instskip(SKIP_1) | instid1(VALU_DEP_1)
	v_lshl_or_b32 v0, s2, 8, v0
	s_mov_b32 s2, exec_lo
	v_cmpx_gt_i64_e64 s[4:5], v[0:1]
	s_cbranch_execz .LBB58_8
; %bb.4:
	s_load_b64 s[0:1], s[0:1], 0x10
	s_cmp_eq_f32 s6, 0
	s_wait_kmcnt 0x0
	v_lshl_add_u64 v[0:1], v[0:1], 2, s[0:1]
	s_cbranch_scc1 .LBB58_6
; %bb.5:
	global_load_b32 v2, v[0:1], off
	s_wait_loadcnt 0x0
	v_mul_f32_e32 v2, s6, v2
	s_branch .LBB58_7
.LBB58_6:
	v_mov_b32_e32 v2, 0
.LBB58_7:
	global_store_b32 v[0:1], v2, off
.LBB58_8:
	s_endpgm
	.section	.rodata,"a",@progbits
	.p2align	6, 0x0
	.amdhsa_kernel _ZN9rocsparseL12scale_kernelILj256ElffEEvT0_NS_24const_host_device_scalarIT2_EEPT1_b
		.amdhsa_group_segment_fixed_size 0
		.amdhsa_private_segment_fixed_size 0
		.amdhsa_kernarg_size 28
		.amdhsa_user_sgpr_count 2
		.amdhsa_user_sgpr_dispatch_ptr 0
		.amdhsa_user_sgpr_queue_ptr 0
		.amdhsa_user_sgpr_kernarg_segment_ptr 1
		.amdhsa_user_sgpr_dispatch_id 0
		.amdhsa_user_sgpr_kernarg_preload_length 0
		.amdhsa_user_sgpr_kernarg_preload_offset 0
		.amdhsa_user_sgpr_private_segment_size 0
		.amdhsa_wavefront_size32 1
		.amdhsa_uses_dynamic_stack 0
		.amdhsa_enable_private_segment 0
		.amdhsa_system_sgpr_workgroup_id_x 1
		.amdhsa_system_sgpr_workgroup_id_y 0
		.amdhsa_system_sgpr_workgroup_id_z 0
		.amdhsa_system_sgpr_workgroup_info 0
		.amdhsa_system_vgpr_workitem_id 0
		.amdhsa_next_free_vgpr 3
		.amdhsa_next_free_sgpr 8
		.amdhsa_named_barrier_count 0
		.amdhsa_reserve_vcc 1
		.amdhsa_float_round_mode_32 0
		.amdhsa_float_round_mode_16_64 0
		.amdhsa_float_denorm_mode_32 3
		.amdhsa_float_denorm_mode_16_64 3
		.amdhsa_fp16_overflow 0
		.amdhsa_memory_ordered 1
		.amdhsa_forward_progress 1
		.amdhsa_inst_pref_size 2
		.amdhsa_round_robin_scheduling 0
		.amdhsa_exception_fp_ieee_invalid_op 0
		.amdhsa_exception_fp_denorm_src 0
		.amdhsa_exception_fp_ieee_div_zero 0
		.amdhsa_exception_fp_ieee_overflow 0
		.amdhsa_exception_fp_ieee_underflow 0
		.amdhsa_exception_fp_ieee_inexact 0
		.amdhsa_exception_int_div_zero 0
	.end_amdhsa_kernel
	.section	.text._ZN9rocsparseL12scale_kernelILj256ElffEEvT0_NS_24const_host_device_scalarIT2_EEPT1_b,"axG",@progbits,_ZN9rocsparseL12scale_kernelILj256ElffEEvT0_NS_24const_host_device_scalarIT2_EEPT1_b,comdat
.Lfunc_end58:
	.size	_ZN9rocsparseL12scale_kernelILj256ElffEEvT0_NS_24const_host_device_scalarIT2_EEPT1_b, .Lfunc_end58-_ZN9rocsparseL12scale_kernelILj256ElffEEvT0_NS_24const_host_device_scalarIT2_EEPT1_b
                                        ; -- End function
	.set _ZN9rocsparseL12scale_kernelILj256ElffEEvT0_NS_24const_host_device_scalarIT2_EEPT1_b.num_vgpr, 3
	.set _ZN9rocsparseL12scale_kernelILj256ElffEEvT0_NS_24const_host_device_scalarIT2_EEPT1_b.num_agpr, 0
	.set _ZN9rocsparseL12scale_kernelILj256ElffEEvT0_NS_24const_host_device_scalarIT2_EEPT1_b.numbered_sgpr, 8
	.set _ZN9rocsparseL12scale_kernelILj256ElffEEvT0_NS_24const_host_device_scalarIT2_EEPT1_b.num_named_barrier, 0
	.set _ZN9rocsparseL12scale_kernelILj256ElffEEvT0_NS_24const_host_device_scalarIT2_EEPT1_b.private_seg_size, 0
	.set _ZN9rocsparseL12scale_kernelILj256ElffEEvT0_NS_24const_host_device_scalarIT2_EEPT1_b.uses_vcc, 1
	.set _ZN9rocsparseL12scale_kernelILj256ElffEEvT0_NS_24const_host_device_scalarIT2_EEPT1_b.uses_flat_scratch, 0
	.set _ZN9rocsparseL12scale_kernelILj256ElffEEvT0_NS_24const_host_device_scalarIT2_EEPT1_b.has_dyn_sized_stack, 0
	.set _ZN9rocsparseL12scale_kernelILj256ElffEEvT0_NS_24const_host_device_scalarIT2_EEPT1_b.has_recursion, 0
	.set _ZN9rocsparseL12scale_kernelILj256ElffEEvT0_NS_24const_host_device_scalarIT2_EEPT1_b.has_indirect_call, 0
	.section	.AMDGPU.csdata,"",@progbits
; Kernel info:
; codeLenInByte = 204
; TotalNumSgprs: 10
; NumVgprs: 3
; ScratchSize: 0
; MemoryBound: 0
; FloatMode: 240
; IeeeMode: 1
; LDSByteSize: 0 bytes/workgroup (compile time only)
; SGPRBlocks: 0
; VGPRBlocks: 0
; NumSGPRsForWavesPerEU: 10
; NumVGPRsForWavesPerEU: 3
; NamedBarCnt: 0
; Occupancy: 16
; WaveLimiterHint : 0
; COMPUTE_PGM_RSRC2:SCRATCH_EN: 0
; COMPUTE_PGM_RSRC2:USER_SGPR: 2
; COMPUTE_PGM_RSRC2:TRAP_HANDLER: 0
; COMPUTE_PGM_RSRC2:TGID_X_EN: 1
; COMPUTE_PGM_RSRC2:TGID_Y_EN: 0
; COMPUTE_PGM_RSRC2:TGID_Z_EN: 0
; COMPUTE_PGM_RSRC2:TIDIG_COMP_CNT: 0
	.section	.text._ZN9rocsparseL12scale_kernelILj256ElddEEvT0_NS_24const_host_device_scalarIT2_EEPT1_b,"axG",@progbits,_ZN9rocsparseL12scale_kernelILj256ElddEEvT0_NS_24const_host_device_scalarIT2_EEPT1_b,comdat
	.globl	_ZN9rocsparseL12scale_kernelILj256ElddEEvT0_NS_24const_host_device_scalarIT2_EEPT1_b ; -- Begin function _ZN9rocsparseL12scale_kernelILj256ElddEEvT0_NS_24const_host_device_scalarIT2_EEPT1_b
	.p2align	8
	.type	_ZN9rocsparseL12scale_kernelILj256ElddEEvT0_NS_24const_host_device_scalarIT2_EEPT1_b,@function
_ZN9rocsparseL12scale_kernelILj256ElddEEvT0_NS_24const_host_device_scalarIT2_EEPT1_b: ; @_ZN9rocsparseL12scale_kernelILj256ElddEEvT0_NS_24const_host_device_scalarIT2_EEPT1_b
; %bb.0:
	s_clause 0x1
	s_load_b32 s2, s[0:1], 0x18
	s_load_b128 s[4:7], s[0:1], 0x0
	s_wait_kmcnt 0x0
	s_bitcmp1_b32 s2, 0
	v_mov_b64_e32 v[2:3], s[6:7]
	s_cselect_b32 s2, -1, 0
	s_delay_alu instid0(SALU_CYCLE_1)
	s_and_b32 vcc_lo, exec_lo, s2
	s_cbranch_vccnz .LBB59_2
; %bb.1:
	v_mov_b32_e32 v1, 0
	flat_load_b64 v[2:3], v1, s[6:7]
.LBB59_2:
	s_mov_b32 s2, exec_lo
	s_wait_loadcnt_dscnt 0x0
	s_delay_alu instid0(VALU_DEP_1)
	v_cmpx_neq_f64_e32 1.0, v[2:3]
	s_cbranch_execz .LBB59_7
; %bb.3:
	s_bfe_u32 s2, ttmp6, 0x4000c
	s_and_b32 s3, ttmp6, 15
	s_add_co_i32 s2, s2, 1
	s_getreg_b32 s6, hwreg(HW_REG_IB_STS2, 6, 4)
	s_mul_i32 s2, ttmp9, s2
	v_mov_b32_e32 v1, 0
	s_add_co_i32 s3, s3, s2
	s_cmp_eq_u32 s6, 0
	s_cselect_b32 s2, ttmp9, s3
	s_delay_alu instid0(SALU_CYCLE_1) | instskip(NEXT) | instid1(VALU_DEP_1)
	v_lshl_or_b32 v0, s2, 8, v0
	v_cmp_gt_i64_e32 vcc_lo, s[4:5], v[0:1]
	s_and_b32 exec_lo, exec_lo, vcc_lo
	s_cbranch_execz .LBB59_7
; %bb.4:
	s_load_b64 s[0:1], s[0:1], 0x10
	v_mov_b64_e32 v[4:5], 0
	s_wait_kmcnt 0x0
	v_lshl_add_u64 v[0:1], v[0:1], 3, s[0:1]
	s_mov_b32 s0, exec_lo
	v_cmpx_neq_f64_e32 0, v[2:3]
	s_cbranch_execz .LBB59_6
; %bb.5:
	global_load_b64 v[4:5], v[0:1], off
	s_wait_loadcnt 0x0
	v_mul_f64_e32 v[4:5], v[2:3], v[4:5]
.LBB59_6:
	s_or_b32 exec_lo, exec_lo, s0
	global_store_b64 v[0:1], v[4:5], off
.LBB59_7:
	s_endpgm
	.section	.rodata,"a",@progbits
	.p2align	6, 0x0
	.amdhsa_kernel _ZN9rocsparseL12scale_kernelILj256ElddEEvT0_NS_24const_host_device_scalarIT2_EEPT1_b
		.amdhsa_group_segment_fixed_size 0
		.amdhsa_private_segment_fixed_size 0
		.amdhsa_kernarg_size 28
		.amdhsa_user_sgpr_count 2
		.amdhsa_user_sgpr_dispatch_ptr 0
		.amdhsa_user_sgpr_queue_ptr 0
		.amdhsa_user_sgpr_kernarg_segment_ptr 1
		.amdhsa_user_sgpr_dispatch_id 0
		.amdhsa_user_sgpr_kernarg_preload_length 0
		.amdhsa_user_sgpr_kernarg_preload_offset 0
		.amdhsa_user_sgpr_private_segment_size 0
		.amdhsa_wavefront_size32 1
		.amdhsa_uses_dynamic_stack 0
		.amdhsa_enable_private_segment 0
		.amdhsa_system_sgpr_workgroup_id_x 1
		.amdhsa_system_sgpr_workgroup_id_y 0
		.amdhsa_system_sgpr_workgroup_id_z 0
		.amdhsa_system_sgpr_workgroup_info 0
		.amdhsa_system_vgpr_workitem_id 0
		.amdhsa_next_free_vgpr 6
		.amdhsa_next_free_sgpr 8
		.amdhsa_named_barrier_count 0
		.amdhsa_reserve_vcc 1
		.amdhsa_float_round_mode_32 0
		.amdhsa_float_round_mode_16_64 0
		.amdhsa_float_denorm_mode_32 3
		.amdhsa_float_denorm_mode_16_64 3
		.amdhsa_fp16_overflow 0
		.amdhsa_memory_ordered 1
		.amdhsa_forward_progress 1
		.amdhsa_inst_pref_size 2
		.amdhsa_round_robin_scheduling 0
		.amdhsa_exception_fp_ieee_invalid_op 0
		.amdhsa_exception_fp_denorm_src 0
		.amdhsa_exception_fp_ieee_div_zero 0
		.amdhsa_exception_fp_ieee_overflow 0
		.amdhsa_exception_fp_ieee_underflow 0
		.amdhsa_exception_fp_ieee_inexact 0
		.amdhsa_exception_int_div_zero 0
	.end_amdhsa_kernel
	.section	.text._ZN9rocsparseL12scale_kernelILj256ElddEEvT0_NS_24const_host_device_scalarIT2_EEPT1_b,"axG",@progbits,_ZN9rocsparseL12scale_kernelILj256ElddEEvT0_NS_24const_host_device_scalarIT2_EEPT1_b,comdat
.Lfunc_end59:
	.size	_ZN9rocsparseL12scale_kernelILj256ElddEEvT0_NS_24const_host_device_scalarIT2_EEPT1_b, .Lfunc_end59-_ZN9rocsparseL12scale_kernelILj256ElddEEvT0_NS_24const_host_device_scalarIT2_EEPT1_b
                                        ; -- End function
	.set _ZN9rocsparseL12scale_kernelILj256ElddEEvT0_NS_24const_host_device_scalarIT2_EEPT1_b.num_vgpr, 6
	.set _ZN9rocsparseL12scale_kernelILj256ElddEEvT0_NS_24const_host_device_scalarIT2_EEPT1_b.num_agpr, 0
	.set _ZN9rocsparseL12scale_kernelILj256ElddEEvT0_NS_24const_host_device_scalarIT2_EEPT1_b.numbered_sgpr, 8
	.set _ZN9rocsparseL12scale_kernelILj256ElddEEvT0_NS_24const_host_device_scalarIT2_EEPT1_b.num_named_barrier, 0
	.set _ZN9rocsparseL12scale_kernelILj256ElddEEvT0_NS_24const_host_device_scalarIT2_EEPT1_b.private_seg_size, 0
	.set _ZN9rocsparseL12scale_kernelILj256ElddEEvT0_NS_24const_host_device_scalarIT2_EEPT1_b.uses_vcc, 1
	.set _ZN9rocsparseL12scale_kernelILj256ElddEEvT0_NS_24const_host_device_scalarIT2_EEPT1_b.uses_flat_scratch, 0
	.set _ZN9rocsparseL12scale_kernelILj256ElddEEvT0_NS_24const_host_device_scalarIT2_EEPT1_b.has_dyn_sized_stack, 0
	.set _ZN9rocsparseL12scale_kernelILj256ElddEEvT0_NS_24const_host_device_scalarIT2_EEPT1_b.has_recursion, 0
	.set _ZN9rocsparseL12scale_kernelILj256ElddEEvT0_NS_24const_host_device_scalarIT2_EEPT1_b.has_indirect_call, 0
	.section	.AMDGPU.csdata,"",@progbits
; Kernel info:
; codeLenInByte = 224
; TotalNumSgprs: 10
; NumVgprs: 6
; ScratchSize: 0
; MemoryBound: 1
; FloatMode: 240
; IeeeMode: 1
; LDSByteSize: 0 bytes/workgroup (compile time only)
; SGPRBlocks: 0
; VGPRBlocks: 0
; NumSGPRsForWavesPerEU: 10
; NumVGPRsForWavesPerEU: 6
; NamedBarCnt: 0
; Occupancy: 16
; WaveLimiterHint : 0
; COMPUTE_PGM_RSRC2:SCRATCH_EN: 0
; COMPUTE_PGM_RSRC2:USER_SGPR: 2
; COMPUTE_PGM_RSRC2:TRAP_HANDLER: 0
; COMPUTE_PGM_RSRC2:TGID_X_EN: 1
; COMPUTE_PGM_RSRC2:TGID_Y_EN: 0
; COMPUTE_PGM_RSRC2:TGID_Z_EN: 0
; COMPUTE_PGM_RSRC2:TIDIG_COMP_CNT: 0
	.section	.text._ZN9rocsparseL12scale_kernelILj256El21rocsparse_complex_numIfES2_EEvT0_NS_24const_host_device_scalarIT2_EEPT1_b,"axG",@progbits,_ZN9rocsparseL12scale_kernelILj256El21rocsparse_complex_numIfES2_EEvT0_NS_24const_host_device_scalarIT2_EEPT1_b,comdat
	.globl	_ZN9rocsparseL12scale_kernelILj256El21rocsparse_complex_numIfES2_EEvT0_NS_24const_host_device_scalarIT2_EEPT1_b ; -- Begin function _ZN9rocsparseL12scale_kernelILj256El21rocsparse_complex_numIfES2_EEvT0_NS_24const_host_device_scalarIT2_EEPT1_b
	.p2align	8
	.type	_ZN9rocsparseL12scale_kernelILj256El21rocsparse_complex_numIfES2_EEvT0_NS_24const_host_device_scalarIT2_EEPT1_b,@function
_ZN9rocsparseL12scale_kernelILj256El21rocsparse_complex_numIfES2_EEvT0_NS_24const_host_device_scalarIT2_EEPT1_b: ; @_ZN9rocsparseL12scale_kernelILj256El21rocsparse_complex_numIfES2_EEvT0_NS_24const_host_device_scalarIT2_EEPT1_b
; %bb.0:
	s_clause 0x1
	s_load_b32 s8, s[0:1], 0x18
	s_load_b128 s[4:7], s[0:1], 0x0
	v_mov_b32_e32 v1, 0
	s_or_b64 s[2:3], s[0:1], 8
	s_wait_kmcnt 0x0
	s_bitcmp1_b32 s8, 0
	s_cselect_b32 s3, s3, s7
	s_cselect_b32 s2, s2, s6
	flat_load_b64 v[2:3], v1, s[2:3]
	s_wait_loadcnt_dscnt 0x0
	v_cmp_neq_f32_e32 vcc_lo, 1.0, v2
	v_cmp_neq_f32_e64 s2, 0, v3
	s_or_b32 s2, vcc_lo, s2
	s_delay_alu instid0(SALU_CYCLE_1)
	s_and_saveexec_b32 s3, s2
	s_cbranch_execz .LBB60_6
; %bb.1:
	s_bfe_u32 s2, ttmp6, 0x4000c
	s_and_b32 s3, ttmp6, 15
	s_add_co_i32 s2, s2, 1
	s_getreg_b32 s6, hwreg(HW_REG_IB_STS2, 6, 4)
	s_mul_i32 s2, ttmp9, s2
	s_delay_alu instid0(SALU_CYCLE_1) | instskip(SKIP_2) | instid1(SALU_CYCLE_1)
	s_add_co_i32 s3, s3, s2
	s_cmp_eq_u32 s6, 0
	s_cselect_b32 s2, ttmp9, s3
	v_lshl_or_b32 v0, s2, 8, v0
	s_delay_alu instid0(VALU_DEP_1)
	v_cmp_gt_i64_e32 vcc_lo, s[4:5], v[0:1]
	s_and_b32 exec_lo, exec_lo, vcc_lo
	s_cbranch_execz .LBB60_6
; %bb.2:
	s_load_b64 s[2:3], s[0:1], 0x10
	v_cmp_neq_f32_e32 vcc_lo, 0, v2
	s_wait_xcnt 0x0
	v_cmp_neq_f32_e64 s0, 0, v3
	s_or_b32 s0, vcc_lo, s0
	s_wait_kmcnt 0x0
	v_lshl_add_u64 v[0:1], v[0:1], 3, s[2:3]
	s_and_saveexec_b32 s1, s0
	s_delay_alu instid0(SALU_CYCLE_1)
	s_xor_b32 s0, exec_lo, s1
	s_cbranch_execz .LBB60_4
; %bb.3:
	global_load_b64 v[4:5], v[0:1], off
	v_mov_b32_e32 v6, v3
	s_wait_loadcnt 0x0
	s_delay_alu instid0(VALU_DEP_1) | instskip(NEXT) | instid1(VALU_DEP_1)
	v_pk_mul_f32 v[6:7], v[6:7], v[4:5] op_sel:[0,1] op_sel_hi:[0,0] neg_lo:[0,1]
	v_pk_fma_f32 v[2:3], v[4:5], v[2:3], v[6:7] op_sel_hi:[1,0,1]
	global_store_b64 v[0:1], v[2:3], off
                                        ; implicit-def: $vgpr0_vgpr1
.LBB60_4:
	s_wait_xcnt 0x0
	s_and_not1_saveexec_b32 s0, s0
	s_cbranch_execz .LBB60_6
; %bb.5:
	v_mov_b64_e32 v[2:3], 0
	global_store_b64 v[0:1], v[2:3], off
.LBB60_6:
	s_endpgm
	.section	.rodata,"a",@progbits
	.p2align	6, 0x0
	.amdhsa_kernel _ZN9rocsparseL12scale_kernelILj256El21rocsparse_complex_numIfES2_EEvT0_NS_24const_host_device_scalarIT2_EEPT1_b
		.amdhsa_group_segment_fixed_size 0
		.amdhsa_private_segment_fixed_size 0
		.amdhsa_kernarg_size 28
		.amdhsa_user_sgpr_count 2
		.amdhsa_user_sgpr_dispatch_ptr 0
		.amdhsa_user_sgpr_queue_ptr 0
		.amdhsa_user_sgpr_kernarg_segment_ptr 1
		.amdhsa_user_sgpr_dispatch_id 0
		.amdhsa_user_sgpr_kernarg_preload_length 0
		.amdhsa_user_sgpr_kernarg_preload_offset 0
		.amdhsa_user_sgpr_private_segment_size 0
		.amdhsa_wavefront_size32 1
		.amdhsa_uses_dynamic_stack 0
		.amdhsa_enable_private_segment 0
		.amdhsa_system_sgpr_workgroup_id_x 1
		.amdhsa_system_sgpr_workgroup_id_y 0
		.amdhsa_system_sgpr_workgroup_id_z 0
		.amdhsa_system_sgpr_workgroup_info 0
		.amdhsa_system_vgpr_workitem_id 0
		.amdhsa_next_free_vgpr 8
		.amdhsa_next_free_sgpr 9
		.amdhsa_named_barrier_count 0
		.amdhsa_reserve_vcc 1
		.amdhsa_float_round_mode_32 0
		.amdhsa_float_round_mode_16_64 0
		.amdhsa_float_denorm_mode_32 3
		.amdhsa_float_denorm_mode_16_64 3
		.amdhsa_fp16_overflow 0
		.amdhsa_memory_ordered 1
		.amdhsa_forward_progress 1
		.amdhsa_inst_pref_size 3
		.amdhsa_round_robin_scheduling 0
		.amdhsa_exception_fp_ieee_invalid_op 0
		.amdhsa_exception_fp_denorm_src 0
		.amdhsa_exception_fp_ieee_div_zero 0
		.amdhsa_exception_fp_ieee_overflow 0
		.amdhsa_exception_fp_ieee_underflow 0
		.amdhsa_exception_fp_ieee_inexact 0
		.amdhsa_exception_int_div_zero 0
	.end_amdhsa_kernel
	.section	.text._ZN9rocsparseL12scale_kernelILj256El21rocsparse_complex_numIfES2_EEvT0_NS_24const_host_device_scalarIT2_EEPT1_b,"axG",@progbits,_ZN9rocsparseL12scale_kernelILj256El21rocsparse_complex_numIfES2_EEvT0_NS_24const_host_device_scalarIT2_EEPT1_b,comdat
.Lfunc_end60:
	.size	_ZN9rocsparseL12scale_kernelILj256El21rocsparse_complex_numIfES2_EEvT0_NS_24const_host_device_scalarIT2_EEPT1_b, .Lfunc_end60-_ZN9rocsparseL12scale_kernelILj256El21rocsparse_complex_numIfES2_EEvT0_NS_24const_host_device_scalarIT2_EEPT1_b
                                        ; -- End function
	.set _ZN9rocsparseL12scale_kernelILj256El21rocsparse_complex_numIfES2_EEvT0_NS_24const_host_device_scalarIT2_EEPT1_b.num_vgpr, 8
	.set _ZN9rocsparseL12scale_kernelILj256El21rocsparse_complex_numIfES2_EEvT0_NS_24const_host_device_scalarIT2_EEPT1_b.num_agpr, 0
	.set _ZN9rocsparseL12scale_kernelILj256El21rocsparse_complex_numIfES2_EEvT0_NS_24const_host_device_scalarIT2_EEPT1_b.numbered_sgpr, 9
	.set _ZN9rocsparseL12scale_kernelILj256El21rocsparse_complex_numIfES2_EEvT0_NS_24const_host_device_scalarIT2_EEPT1_b.num_named_barrier, 0
	.set _ZN9rocsparseL12scale_kernelILj256El21rocsparse_complex_numIfES2_EEvT0_NS_24const_host_device_scalarIT2_EEPT1_b.private_seg_size, 0
	.set _ZN9rocsparseL12scale_kernelILj256El21rocsparse_complex_numIfES2_EEvT0_NS_24const_host_device_scalarIT2_EEPT1_b.uses_vcc, 1
	.set _ZN9rocsparseL12scale_kernelILj256El21rocsparse_complex_numIfES2_EEvT0_NS_24const_host_device_scalarIT2_EEPT1_b.uses_flat_scratch, 0
	.set _ZN9rocsparseL12scale_kernelILj256El21rocsparse_complex_numIfES2_EEvT0_NS_24const_host_device_scalarIT2_EEPT1_b.has_dyn_sized_stack, 0
	.set _ZN9rocsparseL12scale_kernelILj256El21rocsparse_complex_numIfES2_EEvT0_NS_24const_host_device_scalarIT2_EEPT1_b.has_recursion, 0
	.set _ZN9rocsparseL12scale_kernelILj256El21rocsparse_complex_numIfES2_EEvT0_NS_24const_host_device_scalarIT2_EEPT1_b.has_indirect_call, 0
	.section	.AMDGPU.csdata,"",@progbits
; Kernel info:
; codeLenInByte = 292
; TotalNumSgprs: 11
; NumVgprs: 8
; ScratchSize: 0
; MemoryBound: 0
; FloatMode: 240
; IeeeMode: 1
; LDSByteSize: 0 bytes/workgroup (compile time only)
; SGPRBlocks: 0
; VGPRBlocks: 0
; NumSGPRsForWavesPerEU: 11
; NumVGPRsForWavesPerEU: 8
; NamedBarCnt: 0
; Occupancy: 16
; WaveLimiterHint : 0
; COMPUTE_PGM_RSRC2:SCRATCH_EN: 0
; COMPUTE_PGM_RSRC2:USER_SGPR: 2
; COMPUTE_PGM_RSRC2:TRAP_HANDLER: 0
; COMPUTE_PGM_RSRC2:TGID_X_EN: 1
; COMPUTE_PGM_RSRC2:TGID_Y_EN: 0
; COMPUTE_PGM_RSRC2:TGID_Z_EN: 0
; COMPUTE_PGM_RSRC2:TIDIG_COMP_CNT: 0
	.section	.text._ZN9rocsparseL12scale_kernelILj256El21rocsparse_complex_numIdES2_EEvT0_NS_24const_host_device_scalarIT2_EEPT1_b,"axG",@progbits,_ZN9rocsparseL12scale_kernelILj256El21rocsparse_complex_numIdES2_EEvT0_NS_24const_host_device_scalarIT2_EEPT1_b,comdat
	.globl	_ZN9rocsparseL12scale_kernelILj256El21rocsparse_complex_numIdES2_EEvT0_NS_24const_host_device_scalarIT2_EEPT1_b ; -- Begin function _ZN9rocsparseL12scale_kernelILj256El21rocsparse_complex_numIdES2_EEvT0_NS_24const_host_device_scalarIT2_EEPT1_b
	.p2align	8
	.type	_ZN9rocsparseL12scale_kernelILj256El21rocsparse_complex_numIdES2_EEvT0_NS_24const_host_device_scalarIT2_EEPT1_b,@function
_ZN9rocsparseL12scale_kernelILj256El21rocsparse_complex_numIdES2_EEvT0_NS_24const_host_device_scalarIT2_EEPT1_b: ; @_ZN9rocsparseL12scale_kernelILj256El21rocsparse_complex_numIdES2_EEvT0_NS_24const_host_device_scalarIT2_EEPT1_b
; %bb.0:
	s_clause 0x1
	s_load_b32 s8, s[0:1], 0x20
	s_load_b128 s[4:7], s[0:1], 0x0
	v_mov_b32_e32 v1, 0
	s_or_b64 s[2:3], s[0:1], 8
	s_wait_kmcnt 0x0
	s_bitcmp1_b32 s8, 0
	s_cselect_b32 s3, s3, s7
	s_cselect_b32 s2, s2, s6
	flat_load_b128 v[2:5], v1, s[2:3]
	s_wait_loadcnt_dscnt 0x0
	v_cmp_neq_f64_e32 vcc_lo, 1.0, v[2:3]
	v_cmp_neq_f64_e64 s2, 0, v[4:5]
	s_or_b32 s2, vcc_lo, s2
	s_delay_alu instid0(SALU_CYCLE_1)
	s_and_saveexec_b32 s3, s2
	s_cbranch_execz .LBB61_5
; %bb.1:
	s_bfe_u32 s2, ttmp6, 0x4000c
	s_and_b32 s3, ttmp6, 15
	s_add_co_i32 s2, s2, 1
	s_getreg_b32 s6, hwreg(HW_REG_IB_STS2, 6, 4)
	s_mul_i32 s2, ttmp9, s2
	s_delay_alu instid0(SALU_CYCLE_1) | instskip(SKIP_2) | instid1(SALU_CYCLE_1)
	s_add_co_i32 s3, s3, s2
	s_cmp_eq_u32 s6, 0
	s_cselect_b32 s2, ttmp9, s3
	v_lshl_or_b32 v0, s2, 8, v0
	s_delay_alu instid0(VALU_DEP_1)
	v_cmp_gt_i64_e32 vcc_lo, s[4:5], v[0:1]
	s_and_b32 exec_lo, exec_lo, vcc_lo
	s_cbranch_execz .LBB61_5
; %bb.2:
	v_cmp_neq_f64_e32 vcc_lo, 0, v[2:3]
	v_cmp_neq_f64_e64 s2, 0, v[4:5]
	s_load_b64 s[0:1], s[0:1], 0x18
	v_mov_b64_e32 v[6:7], 0
	v_mov_b64_e32 v[8:9], 0
	s_wait_kmcnt 0x0
	v_lshl_add_u64 v[0:1], v[0:1], 4, s[0:1]
	s_or_b32 s1, vcc_lo, s2
	s_delay_alu instid0(SALU_CYCLE_1)
	s_and_saveexec_b32 s0, s1
	s_cbranch_execz .LBB61_4
; %bb.3:
	global_load_b128 v[10:13], v[0:1], off
	s_wait_loadcnt 0x0
	v_mul_f64_e64 v[6:7], v[4:5], -v[12:13]
	v_mul_f64_e32 v[8:9], v[4:5], v[10:11]
	s_delay_alu instid0(VALU_DEP_2) | instskip(NEXT) | instid1(VALU_DEP_2)
	v_fmac_f64_e32 v[6:7], v[10:11], v[2:3]
	v_fmac_f64_e32 v[8:9], v[12:13], v[2:3]
.LBB61_4:
	s_or_b32 exec_lo, exec_lo, s0
	global_store_b128 v[0:1], v[6:9], off
.LBB61_5:
	s_endpgm
	.section	.rodata,"a",@progbits
	.p2align	6, 0x0
	.amdhsa_kernel _ZN9rocsparseL12scale_kernelILj256El21rocsparse_complex_numIdES2_EEvT0_NS_24const_host_device_scalarIT2_EEPT1_b
		.amdhsa_group_segment_fixed_size 0
		.amdhsa_private_segment_fixed_size 0
		.amdhsa_kernarg_size 36
		.amdhsa_user_sgpr_count 2
		.amdhsa_user_sgpr_dispatch_ptr 0
		.amdhsa_user_sgpr_queue_ptr 0
		.amdhsa_user_sgpr_kernarg_segment_ptr 1
		.amdhsa_user_sgpr_dispatch_id 0
		.amdhsa_user_sgpr_kernarg_preload_length 0
		.amdhsa_user_sgpr_kernarg_preload_offset 0
		.amdhsa_user_sgpr_private_segment_size 0
		.amdhsa_wavefront_size32 1
		.amdhsa_uses_dynamic_stack 0
		.amdhsa_enable_private_segment 0
		.amdhsa_system_sgpr_workgroup_id_x 1
		.amdhsa_system_sgpr_workgroup_id_y 0
		.amdhsa_system_sgpr_workgroup_id_z 0
		.amdhsa_system_sgpr_workgroup_info 0
		.amdhsa_system_vgpr_workitem_id 0
		.amdhsa_next_free_vgpr 14
		.amdhsa_next_free_sgpr 9
		.amdhsa_named_barrier_count 0
		.amdhsa_reserve_vcc 1
		.amdhsa_float_round_mode_32 0
		.amdhsa_float_round_mode_16_64 0
		.amdhsa_float_denorm_mode_32 3
		.amdhsa_float_denorm_mode_16_64 3
		.amdhsa_fp16_overflow 0
		.amdhsa_memory_ordered 1
		.amdhsa_forward_progress 1
		.amdhsa_inst_pref_size 3
		.amdhsa_round_robin_scheduling 0
		.amdhsa_exception_fp_ieee_invalid_op 0
		.amdhsa_exception_fp_denorm_src 0
		.amdhsa_exception_fp_ieee_div_zero 0
		.amdhsa_exception_fp_ieee_overflow 0
		.amdhsa_exception_fp_ieee_underflow 0
		.amdhsa_exception_fp_ieee_inexact 0
		.amdhsa_exception_int_div_zero 0
	.end_amdhsa_kernel
	.section	.text._ZN9rocsparseL12scale_kernelILj256El21rocsparse_complex_numIdES2_EEvT0_NS_24const_host_device_scalarIT2_EEPT1_b,"axG",@progbits,_ZN9rocsparseL12scale_kernelILj256El21rocsparse_complex_numIdES2_EEvT0_NS_24const_host_device_scalarIT2_EEPT1_b,comdat
.Lfunc_end61:
	.size	_ZN9rocsparseL12scale_kernelILj256El21rocsparse_complex_numIdES2_EEvT0_NS_24const_host_device_scalarIT2_EEPT1_b, .Lfunc_end61-_ZN9rocsparseL12scale_kernelILj256El21rocsparse_complex_numIdES2_EEvT0_NS_24const_host_device_scalarIT2_EEPT1_b
                                        ; -- End function
	.set _ZN9rocsparseL12scale_kernelILj256El21rocsparse_complex_numIdES2_EEvT0_NS_24const_host_device_scalarIT2_EEPT1_b.num_vgpr, 14
	.set _ZN9rocsparseL12scale_kernelILj256El21rocsparse_complex_numIdES2_EEvT0_NS_24const_host_device_scalarIT2_EEPT1_b.num_agpr, 0
	.set _ZN9rocsparseL12scale_kernelILj256El21rocsparse_complex_numIdES2_EEvT0_NS_24const_host_device_scalarIT2_EEPT1_b.numbered_sgpr, 9
	.set _ZN9rocsparseL12scale_kernelILj256El21rocsparse_complex_numIdES2_EEvT0_NS_24const_host_device_scalarIT2_EEPT1_b.num_named_barrier, 0
	.set _ZN9rocsparseL12scale_kernelILj256El21rocsparse_complex_numIdES2_EEvT0_NS_24const_host_device_scalarIT2_EEPT1_b.private_seg_size, 0
	.set _ZN9rocsparseL12scale_kernelILj256El21rocsparse_complex_numIdES2_EEvT0_NS_24const_host_device_scalarIT2_EEPT1_b.uses_vcc, 1
	.set _ZN9rocsparseL12scale_kernelILj256El21rocsparse_complex_numIdES2_EEvT0_NS_24const_host_device_scalarIT2_EEPT1_b.uses_flat_scratch, 0
	.set _ZN9rocsparseL12scale_kernelILj256El21rocsparse_complex_numIdES2_EEvT0_NS_24const_host_device_scalarIT2_EEPT1_b.has_dyn_sized_stack, 0
	.set _ZN9rocsparseL12scale_kernelILj256El21rocsparse_complex_numIdES2_EEvT0_NS_24const_host_device_scalarIT2_EEPT1_b.has_recursion, 0
	.set _ZN9rocsparseL12scale_kernelILj256El21rocsparse_complex_numIdES2_EEvT0_NS_24const_host_device_scalarIT2_EEPT1_b.has_indirect_call, 0
	.section	.AMDGPU.csdata,"",@progbits
; Kernel info:
; codeLenInByte = 268
; TotalNumSgprs: 11
; NumVgprs: 14
; ScratchSize: 0
; MemoryBound: 0
; FloatMode: 240
; IeeeMode: 1
; LDSByteSize: 0 bytes/workgroup (compile time only)
; SGPRBlocks: 0
; VGPRBlocks: 0
; NumSGPRsForWavesPerEU: 11
; NumVGPRsForWavesPerEU: 14
; NamedBarCnt: 0
; Occupancy: 16
; WaveLimiterHint : 0
; COMPUTE_PGM_RSRC2:SCRATCH_EN: 0
; COMPUTE_PGM_RSRC2:USER_SGPR: 2
; COMPUTE_PGM_RSRC2:TRAP_HANDLER: 0
; COMPUTE_PGM_RSRC2:TGID_X_EN: 1
; COMPUTE_PGM_RSRC2:TGID_Y_EN: 0
; COMPUTE_PGM_RSRC2:TGID_Z_EN: 0
; COMPUTE_PGM_RSRC2:TIDIG_COMP_CNT: 0
	.section	.text._ZN9rocsparseL15scale_2d_kernelILj256EiDF16_EEvT0_S1_llNS_24const_host_device_scalarIT1_EEPS3_16rocsparse_order_b,"axG",@progbits,_ZN9rocsparseL15scale_2d_kernelILj256EiDF16_EEvT0_S1_llNS_24const_host_device_scalarIT1_EEPS3_16rocsparse_order_b,comdat
	.globl	_ZN9rocsparseL15scale_2d_kernelILj256EiDF16_EEvT0_S1_llNS_24const_host_device_scalarIT1_EEPS3_16rocsparse_order_b ; -- Begin function _ZN9rocsparseL15scale_2d_kernelILj256EiDF16_EEvT0_S1_llNS_24const_host_device_scalarIT1_EEPS3_16rocsparse_order_b
	.p2align	8
	.type	_ZN9rocsparseL15scale_2d_kernelILj256EiDF16_EEvT0_S1_llNS_24const_host_device_scalarIT1_EEPS3_16rocsparse_order_b,@function
_ZN9rocsparseL15scale_2d_kernelILj256EiDF16_EEvT0_S1_llNS_24const_host_device_scalarIT1_EEPS3_16rocsparse_order_b: ; @_ZN9rocsparseL15scale_2d_kernelILj256EiDF16_EEvT0_S1_llNS_24const_host_device_scalarIT1_EEPS3_16rocsparse_order_b
; %bb.0:
	s_clause 0x1
	s_load_b64 s[4:5], s[0:1], 0x28
	s_load_b64 s[2:3], s[0:1], 0x18
	s_wait_kmcnt 0x0
	s_bitcmp1_b32 s5, 0
	s_cselect_b32 s5, -1, 0
	s_delay_alu instid0(SALU_CYCLE_1)
	s_and_b32 vcc_lo, exec_lo, s5
	s_cbranch_vccnz .LBB62_2
; %bb.1:
	v_mov_b32_e32 v1, 0
	global_load_u16 v1, v1, s[2:3]
	s_wait_loadcnt 0x0
	v_readfirstlane_b32 s2, v1
.LBB62_2:
	s_delay_alu instid0(VALU_DEP_1)
	s_cmp_eq_f16 s2, 0x3c00
	s_cbranch_scc1 .LBB62_8
; %bb.3:
	s_load_b64 s[6:7], s[0:1], 0x0
	s_bfe_u32 s3, ttmp6, 0x4000c
	s_and_b32 s5, ttmp6, 15
	s_add_co_i32 s3, s3, 1
	s_delay_alu instid0(SALU_CYCLE_1) | instskip(SKIP_4) | instid1(SALU_CYCLE_1)
	s_mul_i32 s8, ttmp9, s3
	s_getreg_b32 s3, hwreg(HW_REG_IB_STS2, 6, 4)
	s_add_co_i32 s5, s5, s8
	s_cmp_eq_u32 s3, 0
	s_cselect_b32 s5, ttmp9, s5
	v_lshl_or_b32 v0, s5, 8, v0
	s_wait_kmcnt 0x0
	s_mul_i32 s5, s7, s6
	s_delay_alu instid0(VALU_DEP_1) | instid1(SALU_CYCLE_1)
	v_cmp_gt_i32_e32 vcc_lo, s5, v0
	s_and_saveexec_b32 s5, vcc_lo
	s_cbranch_execz .LBB62_8
; %bb.4:
	s_cmp_eq_u32 s4, 1
	s_cselect_b32 s8, s6, s7
	s_delay_alu instid0(SALU_CYCLE_1) | instskip(NEXT) | instid1(SALU_CYCLE_1)
	s_abs_i32 s9, s8
	s_cvt_f32_u32 s4, s9
	s_sub_co_i32 s5, 0, s9
	s_delay_alu instid0(SALU_CYCLE_2) | instskip(SKIP_1) | instid1(TRANS32_DEP_1)
	v_rcp_iflag_f32_e32 v1, s4
	v_nop
	v_readfirstlane_b32 s4, v1
	v_sub_nc_u32_e32 v1, 0, v0
	s_mul_f32 s4, s4, 0x4f7ffffe
	s_delay_alu instid0(VALU_DEP_1) | instskip(NEXT) | instid1(SALU_CYCLE_2)
	v_max_i32_e32 v1, v0, v1
	s_cvt_u32_f32 s4, s4
	s_delay_alu instid0(SALU_CYCLE_3) | instskip(NEXT) | instid1(SALU_CYCLE_1)
	s_mul_i32 s5, s5, s4
	s_mul_hi_u32 s5, s4, s5
	s_delay_alu instid0(SALU_CYCLE_1) | instskip(NEXT) | instid1(SALU_CYCLE_1)
	s_add_co_i32 s4, s4, s5
	v_mul_hi_u32 v2, v1, s4
	s_load_b128 s[4:7], s[0:1], 0x8
	s_delay_alu instid0(VALU_DEP_1) | instskip(SKIP_2) | instid1(VALU_DEP_1)
	v_mul_lo_u32 v3, v2, s9
	s_wait_xcnt 0x0
	s_load_b64 s[0:1], s[0:1], 0x20
	v_dual_sub_nc_u32 v1, v1, v3 :: v_dual_add_nc_u32 v3, 1, v2
	s_delay_alu instid0(VALU_DEP_1) | instskip(NEXT) | instid1(VALU_DEP_2)
	v_cmp_le_u32_e32 vcc_lo, s9, v1
	v_dual_cndmask_b32 v2, v2, v3, vcc_lo :: v_dual_bitop2_b32 v3, s8, v0 bitop3:0x14
	v_subrev_nc_u32_e32 v4, s9, v1
	s_delay_alu instid0(VALU_DEP_1) | instskip(NEXT) | instid1(VALU_DEP_1)
	v_dual_cndmask_b32 v1, v1, v4 :: v_dual_add_nc_u32 v4, 1, v2
	v_cmp_le_u32_e32 vcc_lo, s9, v1
	s_delay_alu instid0(VALU_DEP_2) | instskip(NEXT) | instid1(VALU_DEP_1)
	v_dual_ashrrev_i32 v3, 31, v3 :: v_dual_cndmask_b32 v1, v2, v4, vcc_lo
	v_xor_b32_e32 v1, v1, v3
	s_delay_alu instid0(VALU_DEP_1) | instskip(NEXT) | instid1(VALU_DEP_1)
	v_sub_nc_u32_e32 v2, v1, v3
	v_mul_lo_u32 v1, v2, s8
	s_delay_alu instid0(VALU_DEP_1) | instskip(NEXT) | instid1(VALU_DEP_1)
	v_dual_sub_nc_u32 v0, v0, v1 :: v_dual_ashrrev_i32 v3, 31, v2
	v_ashrrev_i32_e32 v1, 31, v0
	s_wait_kmcnt 0x0
	s_delay_alu instid0(VALU_DEP_2) | instskip(SKIP_3) | instid1(SALU_CYCLE_1)
	v_mul_u64_e32 v[4:5], s[4:5], v[2:3]
	s_bfe_u32 s4, ttmp6, 0x40010
	s_bfe_u32 s5, ttmp6, 0x40004
	s_add_co_i32 s4, s4, 1
	s_mul_i32 s4, ttmp7, s4
	s_delay_alu instid0(SALU_CYCLE_1) | instskip(SKIP_1) | instid1(VALU_DEP_1)
	s_add_co_i32 s5, s5, s4
	s_cmp_eq_u32 s3, 0
	v_lshl_add_u64 v[2:3], v[4:5], 1, s[0:1]
	s_cselect_b32 s0, ttmp7, s5
	s_delay_alu instid0(SALU_CYCLE_1) | instskip(SKIP_1) | instid1(VALU_DEP_1)
	s_ashr_i32 s1, s0, 31
	s_cmp_eq_f16 s2, 0
	v_lshl_add_u64 v[0:1], v[0:1], 1, v[2:3]
	s_mul_u64 s[0:1], s[6:7], s[0:1]
	s_delay_alu instid0(VALU_DEP_1) | instid1(SALU_CYCLE_1)
	v_lshl_add_u64 v[0:1], s[0:1], 1, v[0:1]
	s_cbranch_scc1 .LBB62_6
; %bb.5:
	global_load_u16 v2, v[0:1], off
	s_wait_loadcnt 0x0
	v_mul_f16_e32 v2, s2, v2
	s_branch .LBB62_7
.LBB62_6:
	v_mov_b32_e32 v2, 0
.LBB62_7:
	global_store_b16 v[0:1], v2, off
.LBB62_8:
	s_endpgm
	.section	.rodata,"a",@progbits
	.p2align	6, 0x0
	.amdhsa_kernel _ZN9rocsparseL15scale_2d_kernelILj256EiDF16_EEvT0_S1_llNS_24const_host_device_scalarIT1_EEPS3_16rocsparse_order_b
		.amdhsa_group_segment_fixed_size 0
		.amdhsa_private_segment_fixed_size 0
		.amdhsa_kernarg_size 48
		.amdhsa_user_sgpr_count 2
		.amdhsa_user_sgpr_dispatch_ptr 0
		.amdhsa_user_sgpr_queue_ptr 0
		.amdhsa_user_sgpr_kernarg_segment_ptr 1
		.amdhsa_user_sgpr_dispatch_id 0
		.amdhsa_user_sgpr_kernarg_preload_length 0
		.amdhsa_user_sgpr_kernarg_preload_offset 0
		.amdhsa_user_sgpr_private_segment_size 0
		.amdhsa_wavefront_size32 1
		.amdhsa_uses_dynamic_stack 0
		.amdhsa_enable_private_segment 0
		.amdhsa_system_sgpr_workgroup_id_x 1
		.amdhsa_system_sgpr_workgroup_id_y 1
		.amdhsa_system_sgpr_workgroup_id_z 0
		.amdhsa_system_sgpr_workgroup_info 0
		.amdhsa_system_vgpr_workitem_id 0
		.amdhsa_next_free_vgpr 6
		.amdhsa_next_free_sgpr 10
		.amdhsa_named_barrier_count 0
		.amdhsa_reserve_vcc 1
		.amdhsa_float_round_mode_32 0
		.amdhsa_float_round_mode_16_64 0
		.amdhsa_float_denorm_mode_32 3
		.amdhsa_float_denorm_mode_16_64 3
		.amdhsa_fp16_overflow 0
		.amdhsa_memory_ordered 1
		.amdhsa_forward_progress 1
		.amdhsa_inst_pref_size 5
		.amdhsa_round_robin_scheduling 0
		.amdhsa_exception_fp_ieee_invalid_op 0
		.amdhsa_exception_fp_denorm_src 0
		.amdhsa_exception_fp_ieee_div_zero 0
		.amdhsa_exception_fp_ieee_overflow 0
		.amdhsa_exception_fp_ieee_underflow 0
		.amdhsa_exception_fp_ieee_inexact 0
		.amdhsa_exception_int_div_zero 0
	.end_amdhsa_kernel
	.section	.text._ZN9rocsparseL15scale_2d_kernelILj256EiDF16_EEvT0_S1_llNS_24const_host_device_scalarIT1_EEPS3_16rocsparse_order_b,"axG",@progbits,_ZN9rocsparseL15scale_2d_kernelILj256EiDF16_EEvT0_S1_llNS_24const_host_device_scalarIT1_EEPS3_16rocsparse_order_b,comdat
.Lfunc_end62:
	.size	_ZN9rocsparseL15scale_2d_kernelILj256EiDF16_EEvT0_S1_llNS_24const_host_device_scalarIT1_EEPS3_16rocsparse_order_b, .Lfunc_end62-_ZN9rocsparseL15scale_2d_kernelILj256EiDF16_EEvT0_S1_llNS_24const_host_device_scalarIT1_EEPS3_16rocsparse_order_b
                                        ; -- End function
	.set _ZN9rocsparseL15scale_2d_kernelILj256EiDF16_EEvT0_S1_llNS_24const_host_device_scalarIT1_EEPS3_16rocsparse_order_b.num_vgpr, 6
	.set _ZN9rocsparseL15scale_2d_kernelILj256EiDF16_EEvT0_S1_llNS_24const_host_device_scalarIT1_EEPS3_16rocsparse_order_b.num_agpr, 0
	.set _ZN9rocsparseL15scale_2d_kernelILj256EiDF16_EEvT0_S1_llNS_24const_host_device_scalarIT1_EEPS3_16rocsparse_order_b.numbered_sgpr, 10
	.set _ZN9rocsparseL15scale_2d_kernelILj256EiDF16_EEvT0_S1_llNS_24const_host_device_scalarIT1_EEPS3_16rocsparse_order_b.num_named_barrier, 0
	.set _ZN9rocsparseL15scale_2d_kernelILj256EiDF16_EEvT0_S1_llNS_24const_host_device_scalarIT1_EEPS3_16rocsparse_order_b.private_seg_size, 0
	.set _ZN9rocsparseL15scale_2d_kernelILj256EiDF16_EEvT0_S1_llNS_24const_host_device_scalarIT1_EEPS3_16rocsparse_order_b.uses_vcc, 1
	.set _ZN9rocsparseL15scale_2d_kernelILj256EiDF16_EEvT0_S1_llNS_24const_host_device_scalarIT1_EEPS3_16rocsparse_order_b.uses_flat_scratch, 0
	.set _ZN9rocsparseL15scale_2d_kernelILj256EiDF16_EEvT0_S1_llNS_24const_host_device_scalarIT1_EEPS3_16rocsparse_order_b.has_dyn_sized_stack, 0
	.set _ZN9rocsparseL15scale_2d_kernelILj256EiDF16_EEvT0_S1_llNS_24const_host_device_scalarIT1_EEPS3_16rocsparse_order_b.has_recursion, 0
	.set _ZN9rocsparseL15scale_2d_kernelILj256EiDF16_EEvT0_S1_llNS_24const_host_device_scalarIT1_EEPS3_16rocsparse_order_b.has_indirect_call, 0
	.section	.AMDGPU.csdata,"",@progbits
; Kernel info:
; codeLenInByte = 540
; TotalNumSgprs: 12
; NumVgprs: 6
; ScratchSize: 0
; MemoryBound: 0
; FloatMode: 240
; IeeeMode: 1
; LDSByteSize: 0 bytes/workgroup (compile time only)
; SGPRBlocks: 0
; VGPRBlocks: 0
; NumSGPRsForWavesPerEU: 12
; NumVGPRsForWavesPerEU: 6
; NamedBarCnt: 0
; Occupancy: 16
; WaveLimiterHint : 0
; COMPUTE_PGM_RSRC2:SCRATCH_EN: 0
; COMPUTE_PGM_RSRC2:USER_SGPR: 2
; COMPUTE_PGM_RSRC2:TRAP_HANDLER: 0
; COMPUTE_PGM_RSRC2:TGID_X_EN: 1
; COMPUTE_PGM_RSRC2:TGID_Y_EN: 1
; COMPUTE_PGM_RSRC2:TGID_Z_EN: 0
; COMPUTE_PGM_RSRC2:TIDIG_COMP_CNT: 0
	.section	.text._ZN9rocsparseL15scale_2d_kernelILj256EiiEEvT0_S1_llNS_24const_host_device_scalarIT1_EEPS3_16rocsparse_order_b,"axG",@progbits,_ZN9rocsparseL15scale_2d_kernelILj256EiiEEvT0_S1_llNS_24const_host_device_scalarIT1_EEPS3_16rocsparse_order_b,comdat
	.globl	_ZN9rocsparseL15scale_2d_kernelILj256EiiEEvT0_S1_llNS_24const_host_device_scalarIT1_EEPS3_16rocsparse_order_b ; -- Begin function _ZN9rocsparseL15scale_2d_kernelILj256EiiEEvT0_S1_llNS_24const_host_device_scalarIT1_EEPS3_16rocsparse_order_b
	.p2align	8
	.type	_ZN9rocsparseL15scale_2d_kernelILj256EiiEEvT0_S1_llNS_24const_host_device_scalarIT1_EEPS3_16rocsparse_order_b,@function
_ZN9rocsparseL15scale_2d_kernelILj256EiiEEvT0_S1_llNS_24const_host_device_scalarIT1_EEPS3_16rocsparse_order_b: ; @_ZN9rocsparseL15scale_2d_kernelILj256EiiEEvT0_S1_llNS_24const_host_device_scalarIT1_EEPS3_16rocsparse_order_b
; %bb.0:
	s_clause 0x1
	s_load_b64 s[2:3], s[0:1], 0x28
	s_load_b64 s[4:5], s[0:1], 0x18
	s_mov_b32 s6, 0
	s_wait_kmcnt 0x0
	s_bitcmp0_b32 s3, 0
	s_cbranch_scc0 .LBB63_2
; %bb.1:
	s_load_b32 s3, s[4:5], 0x0
	s_and_not1_b32 vcc_lo, exec_lo, s6
	s_cbranch_vccz .LBB63_3
	s_branch .LBB63_4
.LBB63_2:
                                        ; implicit-def: $sgpr3
.LBB63_3:
	s_wait_kmcnt 0x0
	s_mov_b32 s3, s4
.LBB63_4:
	s_wait_kmcnt 0x0
	s_cmp_eq_u32 s3, 1
	s_cbranch_scc1 .LBB63_10
; %bb.5:
	s_load_b64 s[4:5], s[0:1], 0x0
	s_bfe_u32 s6, ttmp6, 0x4000c
	s_and_b32 s7, ttmp6, 15
	s_add_co_i32 s6, s6, 1
	s_delay_alu instid0(SALU_CYCLE_1) | instskip(SKIP_4) | instid1(SALU_CYCLE_1)
	s_mul_i32 s8, ttmp9, s6
	s_getreg_b32 s6, hwreg(HW_REG_IB_STS2, 6, 4)
	s_add_co_i32 s7, s7, s8
	s_cmp_eq_u32 s6, 0
	s_cselect_b32 s7, ttmp9, s7
	v_lshl_or_b32 v0, s7, 8, v0
	s_wait_kmcnt 0x0
	s_mul_i32 s7, s5, s4
	s_delay_alu instid0(VALU_DEP_1) | instid1(SALU_CYCLE_1)
	v_cmp_gt_i32_e32 vcc_lo, s7, v0
	s_and_saveexec_b32 s7, vcc_lo
	s_cbranch_execz .LBB63_10
; %bb.6:
	s_cmp_eq_u32 s2, 1
	s_load_b128 s[8:11], s[0:1], 0x8
	s_cselect_b32 s2, s4, s5
	s_wait_xcnt 0x0
	s_load_b64 s[0:1], s[0:1], 0x20
	s_abs_i32 s4, s2
	s_delay_alu instid0(SALU_CYCLE_1) | instskip(SKIP_1) | instid1(SALU_CYCLE_2)
	s_cvt_f32_u32 s5, s4
	s_sub_co_i32 s7, 0, s4
	v_rcp_iflag_f32_e32 v1, s5
	v_nop
	s_delay_alu instid0(TRANS32_DEP_1) | instskip(SKIP_2) | instid1(VALU_DEP_1)
	v_readfirstlane_b32 s5, v1
	v_sub_nc_u32_e32 v1, 0, v0
	s_mul_f32 s5, s5, 0x4f7ffffe
	v_max_i32_e32 v1, v0, v1
	s_delay_alu instid0(SALU_CYCLE_2) | instskip(NEXT) | instid1(SALU_CYCLE_3)
	s_cvt_u32_f32 s5, s5
	s_mul_i32 s7, s7, s5
	s_delay_alu instid0(SALU_CYCLE_1) | instskip(NEXT) | instid1(SALU_CYCLE_1)
	s_mul_hi_u32 s7, s5, s7
	s_add_co_i32 s5, s5, s7
	s_delay_alu instid0(SALU_CYCLE_1) | instskip(NEXT) | instid1(VALU_DEP_1)
	v_mul_hi_u32 v2, v1, s5
	v_mul_lo_u32 v3, v2, s4
	s_delay_alu instid0(VALU_DEP_1) | instskip(NEXT) | instid1(VALU_DEP_1)
	v_dual_sub_nc_u32 v1, v1, v3 :: v_dual_add_nc_u32 v3, 1, v2
	v_cmp_le_u32_e32 vcc_lo, s4, v1
	s_delay_alu instid0(VALU_DEP_2) | instskip(SKIP_1) | instid1(VALU_DEP_1)
	v_dual_cndmask_b32 v2, v2, v3, vcc_lo :: v_dual_bitop2_b32 v3, s2, v0 bitop3:0x14
	v_subrev_nc_u32_e32 v4, s4, v1
	v_dual_cndmask_b32 v1, v1, v4 :: v_dual_add_nc_u32 v4, 1, v2
	s_delay_alu instid0(VALU_DEP_1) | instskip(NEXT) | instid1(VALU_DEP_4)
	v_cmp_le_u32_e32 vcc_lo, s4, v1
	v_ashrrev_i32_e32 v3, 31, v3
	s_bfe_u32 s4, ttmp6, 0x40004
	s_delay_alu instid0(VALU_DEP_3) | instskip(NEXT) | instid1(VALU_DEP_1)
	v_cndmask_b32_e32 v1, v2, v4, vcc_lo
	v_xor_b32_e32 v1, v1, v3
	s_delay_alu instid0(VALU_DEP_1) | instskip(NEXT) | instid1(VALU_DEP_1)
	v_sub_nc_u32_e32 v2, v1, v3
	v_mul_lo_u32 v1, v2, s2
	s_bfe_u32 s2, ttmp6, 0x40010
	s_delay_alu instid0(SALU_CYCLE_1) | instskip(NEXT) | instid1(SALU_CYCLE_1)
	s_add_co_i32 s2, s2, 1
	s_mul_i32 s2, ttmp7, s2
	s_delay_alu instid0(SALU_CYCLE_1) | instskip(SKIP_1) | instid1(VALU_DEP_1)
	s_add_co_i32 s4, s4, s2
	s_cmp_eq_u32 s6, 0
	v_dual_sub_nc_u32 v0, v0, v1 :: v_dual_ashrrev_i32 v3, 31, v2
	s_delay_alu instid0(VALU_DEP_1) | instskip(SKIP_1) | instid1(VALU_DEP_2)
	v_ashrrev_i32_e32 v1, 31, v0
	s_wait_kmcnt 0x0
	v_mul_u64_e32 v[4:5], s[8:9], v[2:3]
	s_delay_alu instid0(VALU_DEP_1) | instskip(SKIP_1) | instid1(SALU_CYCLE_1)
	v_lshl_add_u64 v[2:3], v[4:5], 2, s[0:1]
	s_cselect_b32 s0, ttmp7, s4
	s_ashr_i32 s1, s0, 31
	s_cmp_eq_u32 s3, 0
	s_delay_alu instid0(VALU_DEP_1)
	v_lshl_add_u64 v[0:1], v[0:1], 2, v[2:3]
	s_mul_u64 s[0:1], s[10:11], s[0:1]
	s_delay_alu instid0(VALU_DEP_1) | instid1(SALU_CYCLE_1)
	v_lshl_add_u64 v[0:1], s[0:1], 2, v[0:1]
	s_cbranch_scc1 .LBB63_8
; %bb.7:
	global_load_b32 v2, v[0:1], off
	s_wait_loadcnt 0x0
	v_mul_lo_u32 v2, v2, s3
	s_branch .LBB63_9
.LBB63_8:
	v_mov_b32_e32 v2, 0
.LBB63_9:
	global_store_b32 v[0:1], v2, off
.LBB63_10:
	s_endpgm
	.section	.rodata,"a",@progbits
	.p2align	6, 0x0
	.amdhsa_kernel _ZN9rocsparseL15scale_2d_kernelILj256EiiEEvT0_S1_llNS_24const_host_device_scalarIT1_EEPS3_16rocsparse_order_b
		.amdhsa_group_segment_fixed_size 0
		.amdhsa_private_segment_fixed_size 0
		.amdhsa_kernarg_size 48
		.amdhsa_user_sgpr_count 2
		.amdhsa_user_sgpr_dispatch_ptr 0
		.amdhsa_user_sgpr_queue_ptr 0
		.amdhsa_user_sgpr_kernarg_segment_ptr 1
		.amdhsa_user_sgpr_dispatch_id 0
		.amdhsa_user_sgpr_kernarg_preload_length 0
		.amdhsa_user_sgpr_kernarg_preload_offset 0
		.amdhsa_user_sgpr_private_segment_size 0
		.amdhsa_wavefront_size32 1
		.amdhsa_uses_dynamic_stack 0
		.amdhsa_enable_private_segment 0
		.amdhsa_system_sgpr_workgroup_id_x 1
		.amdhsa_system_sgpr_workgroup_id_y 1
		.amdhsa_system_sgpr_workgroup_id_z 0
		.amdhsa_system_sgpr_workgroup_info 0
		.amdhsa_system_vgpr_workitem_id 0
		.amdhsa_next_free_vgpr 6
		.amdhsa_next_free_sgpr 12
		.amdhsa_named_barrier_count 0
		.amdhsa_reserve_vcc 1
		.amdhsa_float_round_mode_32 0
		.amdhsa_float_round_mode_16_64 0
		.amdhsa_float_denorm_mode_32 3
		.amdhsa_float_denorm_mode_16_64 3
		.amdhsa_fp16_overflow 0
		.amdhsa_memory_ordered 1
		.amdhsa_forward_progress 1
		.amdhsa_inst_pref_size 5
		.amdhsa_round_robin_scheduling 0
		.amdhsa_exception_fp_ieee_invalid_op 0
		.amdhsa_exception_fp_denorm_src 0
		.amdhsa_exception_fp_ieee_div_zero 0
		.amdhsa_exception_fp_ieee_overflow 0
		.amdhsa_exception_fp_ieee_underflow 0
		.amdhsa_exception_fp_ieee_inexact 0
		.amdhsa_exception_int_div_zero 0
	.end_amdhsa_kernel
	.section	.text._ZN9rocsparseL15scale_2d_kernelILj256EiiEEvT0_S1_llNS_24const_host_device_scalarIT1_EEPS3_16rocsparse_order_b,"axG",@progbits,_ZN9rocsparseL15scale_2d_kernelILj256EiiEEvT0_S1_llNS_24const_host_device_scalarIT1_EEPS3_16rocsparse_order_b,comdat
.Lfunc_end63:
	.size	_ZN9rocsparseL15scale_2d_kernelILj256EiiEEvT0_S1_llNS_24const_host_device_scalarIT1_EEPS3_16rocsparse_order_b, .Lfunc_end63-_ZN9rocsparseL15scale_2d_kernelILj256EiiEEvT0_S1_llNS_24const_host_device_scalarIT1_EEPS3_16rocsparse_order_b
                                        ; -- End function
	.set _ZN9rocsparseL15scale_2d_kernelILj256EiiEEvT0_S1_llNS_24const_host_device_scalarIT1_EEPS3_16rocsparse_order_b.num_vgpr, 6
	.set _ZN9rocsparseL15scale_2d_kernelILj256EiiEEvT0_S1_llNS_24const_host_device_scalarIT1_EEPS3_16rocsparse_order_b.num_agpr, 0
	.set _ZN9rocsparseL15scale_2d_kernelILj256EiiEEvT0_S1_llNS_24const_host_device_scalarIT1_EEPS3_16rocsparse_order_b.numbered_sgpr, 12
	.set _ZN9rocsparseL15scale_2d_kernelILj256EiiEEvT0_S1_llNS_24const_host_device_scalarIT1_EEPS3_16rocsparse_order_b.num_named_barrier, 0
	.set _ZN9rocsparseL15scale_2d_kernelILj256EiiEEvT0_S1_llNS_24const_host_device_scalarIT1_EEPS3_16rocsparse_order_b.private_seg_size, 0
	.set _ZN9rocsparseL15scale_2d_kernelILj256EiiEEvT0_S1_llNS_24const_host_device_scalarIT1_EEPS3_16rocsparse_order_b.uses_vcc, 1
	.set _ZN9rocsparseL15scale_2d_kernelILj256EiiEEvT0_S1_llNS_24const_host_device_scalarIT1_EEPS3_16rocsparse_order_b.uses_flat_scratch, 0
	.set _ZN9rocsparseL15scale_2d_kernelILj256EiiEEvT0_S1_llNS_24const_host_device_scalarIT1_EEPS3_16rocsparse_order_b.has_dyn_sized_stack, 0
	.set _ZN9rocsparseL15scale_2d_kernelILj256EiiEEvT0_S1_llNS_24const_host_device_scalarIT1_EEPS3_16rocsparse_order_b.has_recursion, 0
	.set _ZN9rocsparseL15scale_2d_kernelILj256EiiEEvT0_S1_llNS_24const_host_device_scalarIT1_EEPS3_16rocsparse_order_b.has_indirect_call, 0
	.section	.AMDGPU.csdata,"",@progbits
; Kernel info:
; codeLenInByte = 536
; TotalNumSgprs: 14
; NumVgprs: 6
; ScratchSize: 0
; MemoryBound: 0
; FloatMode: 240
; IeeeMode: 1
; LDSByteSize: 0 bytes/workgroup (compile time only)
; SGPRBlocks: 0
; VGPRBlocks: 0
; NumSGPRsForWavesPerEU: 14
; NumVGPRsForWavesPerEU: 6
; NamedBarCnt: 0
; Occupancy: 16
; WaveLimiterHint : 0
; COMPUTE_PGM_RSRC2:SCRATCH_EN: 0
; COMPUTE_PGM_RSRC2:USER_SGPR: 2
; COMPUTE_PGM_RSRC2:TRAP_HANDLER: 0
; COMPUTE_PGM_RSRC2:TGID_X_EN: 1
; COMPUTE_PGM_RSRC2:TGID_Y_EN: 1
; COMPUTE_PGM_RSRC2:TGID_Z_EN: 0
; COMPUTE_PGM_RSRC2:TIDIG_COMP_CNT: 0
	.section	.text._ZN9rocsparseL15scale_2d_kernelILj256EifEEvT0_S1_llNS_24const_host_device_scalarIT1_EEPS3_16rocsparse_order_b,"axG",@progbits,_ZN9rocsparseL15scale_2d_kernelILj256EifEEvT0_S1_llNS_24const_host_device_scalarIT1_EEPS3_16rocsparse_order_b,comdat
	.globl	_ZN9rocsparseL15scale_2d_kernelILj256EifEEvT0_S1_llNS_24const_host_device_scalarIT1_EEPS3_16rocsparse_order_b ; -- Begin function _ZN9rocsparseL15scale_2d_kernelILj256EifEEvT0_S1_llNS_24const_host_device_scalarIT1_EEPS3_16rocsparse_order_b
	.p2align	8
	.type	_ZN9rocsparseL15scale_2d_kernelILj256EifEEvT0_S1_llNS_24const_host_device_scalarIT1_EEPS3_16rocsparse_order_b,@function
_ZN9rocsparseL15scale_2d_kernelILj256EifEEvT0_S1_llNS_24const_host_device_scalarIT1_EEPS3_16rocsparse_order_b: ; @_ZN9rocsparseL15scale_2d_kernelILj256EifEEvT0_S1_llNS_24const_host_device_scalarIT1_EEPS3_16rocsparse_order_b
; %bb.0:
	s_clause 0x1
	s_load_b64 s[4:5], s[0:1], 0x28
	s_load_b64 s[2:3], s[0:1], 0x18
	s_wait_kmcnt 0x0
	s_bitcmp1_b32 s5, 0
	s_cselect_b32 s5, -1, 0
	s_delay_alu instid0(SALU_CYCLE_1)
	s_and_b32 vcc_lo, exec_lo, s5
	s_cbranch_vccnz .LBB64_2
; %bb.1:
	s_load_b32 s2, s[2:3], 0x0
.LBB64_2:
	s_wait_kmcnt 0x0
	s_cmp_eq_f32 s2, 1.0
	s_cbranch_scc1 .LBB64_8
; %bb.3:
	s_load_b64 s[6:7], s[0:1], 0x0
	s_bfe_u32 s3, ttmp6, 0x4000c
	s_and_b32 s5, ttmp6, 15
	s_add_co_i32 s3, s3, 1
	s_delay_alu instid0(SALU_CYCLE_1) | instskip(SKIP_4) | instid1(SALU_CYCLE_1)
	s_mul_i32 s8, ttmp9, s3
	s_getreg_b32 s3, hwreg(HW_REG_IB_STS2, 6, 4)
	s_add_co_i32 s5, s5, s8
	s_cmp_eq_u32 s3, 0
	s_cselect_b32 s5, ttmp9, s5
	v_lshl_or_b32 v0, s5, 8, v0
	s_wait_kmcnt 0x0
	s_mul_i32 s5, s7, s6
	s_delay_alu instid0(VALU_DEP_1) | instid1(SALU_CYCLE_1)
	v_cmp_gt_i32_e32 vcc_lo, s5, v0
	s_and_saveexec_b32 s5, vcc_lo
	s_cbranch_execz .LBB64_8
; %bb.4:
	s_cmp_eq_u32 s4, 1
	s_cselect_b32 s8, s6, s7
	s_delay_alu instid0(SALU_CYCLE_1) | instskip(NEXT) | instid1(SALU_CYCLE_1)
	s_abs_i32 s9, s8
	s_cvt_f32_u32 s4, s9
	s_sub_co_i32 s5, 0, s9
	s_delay_alu instid0(SALU_CYCLE_2) | instskip(SKIP_1) | instid1(TRANS32_DEP_1)
	v_rcp_iflag_f32_e32 v1, s4
	v_nop
	v_readfirstlane_b32 s4, v1
	v_sub_nc_u32_e32 v1, 0, v0
	s_mul_f32 s4, s4, 0x4f7ffffe
	s_delay_alu instid0(VALU_DEP_1) | instskip(NEXT) | instid1(SALU_CYCLE_2)
	v_max_i32_e32 v1, v0, v1
	s_cvt_u32_f32 s4, s4
	s_delay_alu instid0(SALU_CYCLE_3) | instskip(NEXT) | instid1(SALU_CYCLE_1)
	s_mul_i32 s5, s5, s4
	s_mul_hi_u32 s5, s4, s5
	s_delay_alu instid0(SALU_CYCLE_1) | instskip(NEXT) | instid1(SALU_CYCLE_1)
	s_add_co_i32 s4, s4, s5
	v_mul_hi_u32 v2, v1, s4
	s_load_b128 s[4:7], s[0:1], 0x8
	s_delay_alu instid0(VALU_DEP_1) | instskip(SKIP_2) | instid1(VALU_DEP_1)
	v_mul_lo_u32 v3, v2, s9
	s_wait_xcnt 0x0
	s_load_b64 s[0:1], s[0:1], 0x20
	v_dual_sub_nc_u32 v1, v1, v3 :: v_dual_add_nc_u32 v3, 1, v2
	s_delay_alu instid0(VALU_DEP_1) | instskip(NEXT) | instid1(VALU_DEP_2)
	v_cmp_le_u32_e32 vcc_lo, s9, v1
	v_dual_cndmask_b32 v2, v2, v3, vcc_lo :: v_dual_bitop2_b32 v3, s8, v0 bitop3:0x14
	v_subrev_nc_u32_e32 v4, s9, v1
	s_delay_alu instid0(VALU_DEP_1) | instskip(NEXT) | instid1(VALU_DEP_1)
	v_dual_cndmask_b32 v1, v1, v4 :: v_dual_add_nc_u32 v4, 1, v2
	v_cmp_le_u32_e32 vcc_lo, s9, v1
	s_delay_alu instid0(VALU_DEP_2) | instskip(NEXT) | instid1(VALU_DEP_1)
	v_dual_ashrrev_i32 v3, 31, v3 :: v_dual_cndmask_b32 v1, v2, v4, vcc_lo
	v_xor_b32_e32 v1, v1, v3
	s_delay_alu instid0(VALU_DEP_1) | instskip(NEXT) | instid1(VALU_DEP_1)
	v_sub_nc_u32_e32 v2, v1, v3
	v_mul_lo_u32 v1, v2, s8
	s_delay_alu instid0(VALU_DEP_1) | instskip(NEXT) | instid1(VALU_DEP_1)
	v_dual_sub_nc_u32 v0, v0, v1 :: v_dual_ashrrev_i32 v3, 31, v2
	v_ashrrev_i32_e32 v1, 31, v0
	s_wait_kmcnt 0x0
	s_delay_alu instid0(VALU_DEP_2) | instskip(SKIP_3) | instid1(SALU_CYCLE_1)
	v_mul_u64_e32 v[4:5], s[4:5], v[2:3]
	s_bfe_u32 s4, ttmp6, 0x40010
	s_bfe_u32 s5, ttmp6, 0x40004
	s_add_co_i32 s4, s4, 1
	s_mul_i32 s4, ttmp7, s4
	s_delay_alu instid0(SALU_CYCLE_1) | instskip(SKIP_1) | instid1(VALU_DEP_1)
	s_add_co_i32 s5, s5, s4
	s_cmp_eq_u32 s3, 0
	v_lshl_add_u64 v[2:3], v[4:5], 2, s[0:1]
	s_cselect_b32 s0, ttmp7, s5
	s_delay_alu instid0(SALU_CYCLE_1) | instskip(SKIP_1) | instid1(VALU_DEP_1)
	s_ashr_i32 s1, s0, 31
	s_cmp_eq_f32 s2, 0
	v_lshl_add_u64 v[0:1], v[0:1], 2, v[2:3]
	s_mul_u64 s[0:1], s[6:7], s[0:1]
	s_delay_alu instid0(VALU_DEP_1) | instid1(SALU_CYCLE_1)
	v_lshl_add_u64 v[0:1], s[0:1], 2, v[0:1]
	s_cbranch_scc1 .LBB64_6
; %bb.5:
	global_load_b32 v2, v[0:1], off
	s_wait_loadcnt 0x0
	v_mul_f32_e32 v2, s2, v2
	s_branch .LBB64_7
.LBB64_6:
	v_mov_b32_e32 v2, 0
.LBB64_7:
	global_store_b32 v[0:1], v2, off
.LBB64_8:
	s_endpgm
	.section	.rodata,"a",@progbits
	.p2align	6, 0x0
	.amdhsa_kernel _ZN9rocsparseL15scale_2d_kernelILj256EifEEvT0_S1_llNS_24const_host_device_scalarIT1_EEPS3_16rocsparse_order_b
		.amdhsa_group_segment_fixed_size 0
		.amdhsa_private_segment_fixed_size 0
		.amdhsa_kernarg_size 48
		.amdhsa_user_sgpr_count 2
		.amdhsa_user_sgpr_dispatch_ptr 0
		.amdhsa_user_sgpr_queue_ptr 0
		.amdhsa_user_sgpr_kernarg_segment_ptr 1
		.amdhsa_user_sgpr_dispatch_id 0
		.amdhsa_user_sgpr_kernarg_preload_length 0
		.amdhsa_user_sgpr_kernarg_preload_offset 0
		.amdhsa_user_sgpr_private_segment_size 0
		.amdhsa_wavefront_size32 1
		.amdhsa_uses_dynamic_stack 0
		.amdhsa_enable_private_segment 0
		.amdhsa_system_sgpr_workgroup_id_x 1
		.amdhsa_system_sgpr_workgroup_id_y 1
		.amdhsa_system_sgpr_workgroup_id_z 0
		.amdhsa_system_sgpr_workgroup_info 0
		.amdhsa_system_vgpr_workitem_id 0
		.amdhsa_next_free_vgpr 6
		.amdhsa_next_free_sgpr 10
		.amdhsa_named_barrier_count 0
		.amdhsa_reserve_vcc 1
		.amdhsa_float_round_mode_32 0
		.amdhsa_float_round_mode_16_64 0
		.amdhsa_float_denorm_mode_32 3
		.amdhsa_float_denorm_mode_16_64 3
		.amdhsa_fp16_overflow 0
		.amdhsa_memory_ordered 1
		.amdhsa_forward_progress 1
		.amdhsa_inst_pref_size 5
		.amdhsa_round_robin_scheduling 0
		.amdhsa_exception_fp_ieee_invalid_op 0
		.amdhsa_exception_fp_denorm_src 0
		.amdhsa_exception_fp_ieee_div_zero 0
		.amdhsa_exception_fp_ieee_overflow 0
		.amdhsa_exception_fp_ieee_underflow 0
		.amdhsa_exception_fp_ieee_inexact 0
		.amdhsa_exception_int_div_zero 0
	.end_amdhsa_kernel
	.section	.text._ZN9rocsparseL15scale_2d_kernelILj256EifEEvT0_S1_llNS_24const_host_device_scalarIT1_EEPS3_16rocsparse_order_b,"axG",@progbits,_ZN9rocsparseL15scale_2d_kernelILj256EifEEvT0_S1_llNS_24const_host_device_scalarIT1_EEPS3_16rocsparse_order_b,comdat
.Lfunc_end64:
	.size	_ZN9rocsparseL15scale_2d_kernelILj256EifEEvT0_S1_llNS_24const_host_device_scalarIT1_EEPS3_16rocsparse_order_b, .Lfunc_end64-_ZN9rocsparseL15scale_2d_kernelILj256EifEEvT0_S1_llNS_24const_host_device_scalarIT1_EEPS3_16rocsparse_order_b
                                        ; -- End function
	.set _ZN9rocsparseL15scale_2d_kernelILj256EifEEvT0_S1_llNS_24const_host_device_scalarIT1_EEPS3_16rocsparse_order_b.num_vgpr, 6
	.set _ZN9rocsparseL15scale_2d_kernelILj256EifEEvT0_S1_llNS_24const_host_device_scalarIT1_EEPS3_16rocsparse_order_b.num_agpr, 0
	.set _ZN9rocsparseL15scale_2d_kernelILj256EifEEvT0_S1_llNS_24const_host_device_scalarIT1_EEPS3_16rocsparse_order_b.numbered_sgpr, 10
	.set _ZN9rocsparseL15scale_2d_kernelILj256EifEEvT0_S1_llNS_24const_host_device_scalarIT1_EEPS3_16rocsparse_order_b.num_named_barrier, 0
	.set _ZN9rocsparseL15scale_2d_kernelILj256EifEEvT0_S1_llNS_24const_host_device_scalarIT1_EEPS3_16rocsparse_order_b.private_seg_size, 0
	.set _ZN9rocsparseL15scale_2d_kernelILj256EifEEvT0_S1_llNS_24const_host_device_scalarIT1_EEPS3_16rocsparse_order_b.uses_vcc, 1
	.set _ZN9rocsparseL15scale_2d_kernelILj256EifEEvT0_S1_llNS_24const_host_device_scalarIT1_EEPS3_16rocsparse_order_b.uses_flat_scratch, 0
	.set _ZN9rocsparseL15scale_2d_kernelILj256EifEEvT0_S1_llNS_24const_host_device_scalarIT1_EEPS3_16rocsparse_order_b.has_dyn_sized_stack, 0
	.set _ZN9rocsparseL15scale_2d_kernelILj256EifEEvT0_S1_llNS_24const_host_device_scalarIT1_EEPS3_16rocsparse_order_b.has_recursion, 0
	.set _ZN9rocsparseL15scale_2d_kernelILj256EifEEvT0_S1_llNS_24const_host_device_scalarIT1_EEPS3_16rocsparse_order_b.has_indirect_call, 0
	.section	.AMDGPU.csdata,"",@progbits
; Kernel info:
; codeLenInByte = 520
; TotalNumSgprs: 12
; NumVgprs: 6
; ScratchSize: 0
; MemoryBound: 0
; FloatMode: 240
; IeeeMode: 1
; LDSByteSize: 0 bytes/workgroup (compile time only)
; SGPRBlocks: 0
; VGPRBlocks: 0
; NumSGPRsForWavesPerEU: 12
; NumVGPRsForWavesPerEU: 6
; NamedBarCnt: 0
; Occupancy: 16
; WaveLimiterHint : 0
; COMPUTE_PGM_RSRC2:SCRATCH_EN: 0
; COMPUTE_PGM_RSRC2:USER_SGPR: 2
; COMPUTE_PGM_RSRC2:TRAP_HANDLER: 0
; COMPUTE_PGM_RSRC2:TGID_X_EN: 1
; COMPUTE_PGM_RSRC2:TGID_Y_EN: 1
; COMPUTE_PGM_RSRC2:TGID_Z_EN: 0
; COMPUTE_PGM_RSRC2:TIDIG_COMP_CNT: 0
	.section	.text._ZN9rocsparseL15scale_2d_kernelILj256EidEEvT0_S1_llNS_24const_host_device_scalarIT1_EEPS3_16rocsparse_order_b,"axG",@progbits,_ZN9rocsparseL15scale_2d_kernelILj256EidEEvT0_S1_llNS_24const_host_device_scalarIT1_EEPS3_16rocsparse_order_b,comdat
	.globl	_ZN9rocsparseL15scale_2d_kernelILj256EidEEvT0_S1_llNS_24const_host_device_scalarIT1_EEPS3_16rocsparse_order_b ; -- Begin function _ZN9rocsparseL15scale_2d_kernelILj256EidEEvT0_S1_llNS_24const_host_device_scalarIT1_EEPS3_16rocsparse_order_b
	.p2align	8
	.type	_ZN9rocsparseL15scale_2d_kernelILj256EidEEvT0_S1_llNS_24const_host_device_scalarIT1_EEPS3_16rocsparse_order_b,@function
_ZN9rocsparseL15scale_2d_kernelILj256EidEEvT0_S1_llNS_24const_host_device_scalarIT1_EEPS3_16rocsparse_order_b: ; @_ZN9rocsparseL15scale_2d_kernelILj256EidEEvT0_S1_llNS_24const_host_device_scalarIT1_EEPS3_16rocsparse_order_b
; %bb.0:
	s_clause 0x1
	s_load_b64 s[2:3], s[0:1], 0x28
	s_load_b64 s[4:5], s[0:1], 0x18
	s_wait_kmcnt 0x0
	s_bitcmp1_b32 s3, 0
	v_mov_b64_e32 v[2:3], s[4:5]
	s_cselect_b32 s3, -1, 0
	s_delay_alu instid0(SALU_CYCLE_1)
	s_and_b32 vcc_lo, exec_lo, s3
	s_cbranch_vccnz .LBB65_2
; %bb.1:
	v_mov_b32_e32 v1, 0
	flat_load_b64 v[2:3], v1, s[4:5]
.LBB65_2:
	s_mov_b32 s3, exec_lo
	s_wait_loadcnt_dscnt 0x0
	s_delay_alu instid0(VALU_DEP_1)
	v_cmpx_neq_f64_e32 1.0, v[2:3]
	s_cbranch_execz .LBB65_7
; %bb.3:
	s_load_b64 s[4:5], s[0:1], 0x0
	s_bfe_u32 s3, ttmp6, 0x4000c
	s_and_b32 s6, ttmp6, 15
	s_add_co_i32 s3, s3, 1
	s_delay_alu instid0(SALU_CYCLE_1) | instskip(SKIP_4) | instid1(SALU_CYCLE_1)
	s_mul_i32 s7, ttmp9, s3
	s_getreg_b32 s3, hwreg(HW_REG_IB_STS2, 6, 4)
	s_add_co_i32 s6, s6, s7
	s_cmp_eq_u32 s3, 0
	s_cselect_b32 s6, ttmp9, s6
	v_lshl_or_b32 v0, s6, 8, v0
	s_wait_kmcnt 0x0
	s_mul_i32 s6, s5, s4
	s_delay_alu instid0(VALU_DEP_1) | instid1(SALU_CYCLE_1)
	v_cmp_gt_i32_e32 vcc_lo, s6, v0
	s_and_b32 exec_lo, exec_lo, vcc_lo
	s_cbranch_execz .LBB65_7
; %bb.4:
	s_cmp_eq_u32 s2, 1
	s_cselect_b32 s2, s4, s5
	s_delay_alu instid0(SALU_CYCLE_1) | instskip(NEXT) | instid1(SALU_CYCLE_1)
	s_abs_i32 s8, s2
	s_cvt_f32_u32 s4, s8
	s_sub_co_i32 s5, 0, s8
	s_delay_alu instid0(SALU_CYCLE_2) | instskip(SKIP_1) | instid1(TRANS32_DEP_1)
	v_rcp_iflag_f32_e32 v1, s4
	v_nop
	v_readfirstlane_b32 s4, v1
	v_sub_nc_u32_e32 v1, 0, v0
	s_mul_f32 s4, s4, 0x4f7ffffe
	s_delay_alu instid0(VALU_DEP_1) | instskip(NEXT) | instid1(SALU_CYCLE_2)
	v_max_i32_e32 v1, v0, v1
	s_cvt_u32_f32 s4, s4
	s_delay_alu instid0(SALU_CYCLE_3) | instskip(NEXT) | instid1(SALU_CYCLE_1)
	s_mul_i32 s5, s5, s4
	s_mul_hi_u32 s5, s4, s5
	s_delay_alu instid0(SALU_CYCLE_1) | instskip(NEXT) | instid1(SALU_CYCLE_1)
	s_add_co_i32 s4, s4, s5
	v_mul_hi_u32 v4, v1, s4
	s_load_b128 s[4:7], s[0:1], 0x8
	s_delay_alu instid0(VALU_DEP_1) | instskip(SKIP_2) | instid1(VALU_DEP_1)
	v_mul_lo_u32 v5, v4, s8
	s_wait_xcnt 0x0
	s_load_b64 s[0:1], s[0:1], 0x20
	v_dual_sub_nc_u32 v1, v1, v5 :: v_dual_add_nc_u32 v5, 1, v4
	s_delay_alu instid0(VALU_DEP_1) | instskip(NEXT) | instid1(VALU_DEP_2)
	v_cmp_le_u32_e32 vcc_lo, s8, v1
	v_dual_cndmask_b32 v4, v4, v5, vcc_lo :: v_dual_bitop2_b32 v5, s2, v0 bitop3:0x14
	v_subrev_nc_u32_e32 v6, s8, v1
	s_delay_alu instid0(VALU_DEP_1) | instskip(NEXT) | instid1(VALU_DEP_1)
	v_dual_cndmask_b32 v1, v1, v6 :: v_dual_add_nc_u32 v6, 1, v4
	v_cmp_le_u32_e32 vcc_lo, s8, v1
	s_delay_alu instid0(VALU_DEP_2) | instskip(NEXT) | instid1(VALU_DEP_1)
	v_dual_ashrrev_i32 v5, 31, v5 :: v_dual_cndmask_b32 v1, v4, v6, vcc_lo
	v_xor_b32_e32 v1, v1, v5
	s_delay_alu instid0(VALU_DEP_1) | instskip(NEXT) | instid1(VALU_DEP_1)
	v_sub_nc_u32_e32 v4, v1, v5
	v_mul_lo_u32 v1, v4, s2
	s_bfe_u32 s2, ttmp6, 0x40010
	s_delay_alu instid0(SALU_CYCLE_1) | instskip(NEXT) | instid1(SALU_CYCLE_1)
	s_add_co_i32 s2, s2, 1
	s_mul_i32 s2, ttmp7, s2
	s_delay_alu instid0(VALU_DEP_1) | instskip(NEXT) | instid1(VALU_DEP_1)
	v_sub_nc_u32_e32 v0, v0, v1
	v_ashrrev_i32_e32 v1, 31, v0
	v_ashrrev_i32_e32 v5, 31, v4
	s_wait_kmcnt 0x0
	s_delay_alu instid0(VALU_DEP_1) | instskip(SKIP_1) | instid1(SALU_CYCLE_1)
	v_mul_u64_e32 v[6:7], s[4:5], v[4:5]
	s_bfe_u32 s4, ttmp6, 0x40004
	s_add_co_i32 s4, s4, s2
	s_cmp_eq_u32 s3, 0
	s_delay_alu instid0(VALU_DEP_1) | instskip(SKIP_1) | instid1(SALU_CYCLE_1)
	v_lshl_add_u64 v[4:5], v[6:7], 3, s[0:1]
	s_cselect_b32 s0, ttmp7, s4
	s_ashr_i32 s1, s0, 31
	s_delay_alu instid0(VALU_DEP_1)
	v_lshl_add_u64 v[0:1], v[0:1], 3, v[4:5]
	v_mov_b64_e32 v[4:5], 0
	s_mul_u64 s[0:1], s[6:7], s[0:1]
	s_delay_alu instid0(VALU_DEP_2) | instid1(SALU_CYCLE_1)
	v_lshl_add_u64 v[0:1], s[0:1], 3, v[0:1]
	s_mov_b32 s0, exec_lo
	v_cmpx_neq_f64_e32 0, v[2:3]
	s_cbranch_execz .LBB65_6
; %bb.5:
	global_load_b64 v[4:5], v[0:1], off
	s_wait_loadcnt 0x0
	v_mul_f64_e32 v[4:5], v[2:3], v[4:5]
.LBB65_6:
	s_or_b32 exec_lo, exec_lo, s0
	global_store_b64 v[0:1], v[4:5], off
.LBB65_7:
	s_endpgm
	.section	.rodata,"a",@progbits
	.p2align	6, 0x0
	.amdhsa_kernel _ZN9rocsparseL15scale_2d_kernelILj256EidEEvT0_S1_llNS_24const_host_device_scalarIT1_EEPS3_16rocsparse_order_b
		.amdhsa_group_segment_fixed_size 0
		.amdhsa_private_segment_fixed_size 0
		.amdhsa_kernarg_size 48
		.amdhsa_user_sgpr_count 2
		.amdhsa_user_sgpr_dispatch_ptr 0
		.amdhsa_user_sgpr_queue_ptr 0
		.amdhsa_user_sgpr_kernarg_segment_ptr 1
		.amdhsa_user_sgpr_dispatch_id 0
		.amdhsa_user_sgpr_kernarg_preload_length 0
		.amdhsa_user_sgpr_kernarg_preload_offset 0
		.amdhsa_user_sgpr_private_segment_size 0
		.amdhsa_wavefront_size32 1
		.amdhsa_uses_dynamic_stack 0
		.amdhsa_enable_private_segment 0
		.amdhsa_system_sgpr_workgroup_id_x 1
		.amdhsa_system_sgpr_workgroup_id_y 1
		.amdhsa_system_sgpr_workgroup_id_z 0
		.amdhsa_system_sgpr_workgroup_info 0
		.amdhsa_system_vgpr_workitem_id 0
		.amdhsa_next_free_vgpr 8
		.amdhsa_next_free_sgpr 9
		.amdhsa_named_barrier_count 0
		.amdhsa_reserve_vcc 1
		.amdhsa_float_round_mode_32 0
		.amdhsa_float_round_mode_16_64 0
		.amdhsa_float_denorm_mode_32 3
		.amdhsa_float_denorm_mode_16_64 3
		.amdhsa_fp16_overflow 0
		.amdhsa_memory_ordered 1
		.amdhsa_forward_progress 1
		.amdhsa_inst_pref_size 5
		.amdhsa_round_robin_scheduling 0
		.amdhsa_exception_fp_ieee_invalid_op 0
		.amdhsa_exception_fp_denorm_src 0
		.amdhsa_exception_fp_ieee_div_zero 0
		.amdhsa_exception_fp_ieee_overflow 0
		.amdhsa_exception_fp_ieee_underflow 0
		.amdhsa_exception_fp_ieee_inexact 0
		.amdhsa_exception_int_div_zero 0
	.end_amdhsa_kernel
	.section	.text._ZN9rocsparseL15scale_2d_kernelILj256EidEEvT0_S1_llNS_24const_host_device_scalarIT1_EEPS3_16rocsparse_order_b,"axG",@progbits,_ZN9rocsparseL15scale_2d_kernelILj256EidEEvT0_S1_llNS_24const_host_device_scalarIT1_EEPS3_16rocsparse_order_b,comdat
.Lfunc_end65:
	.size	_ZN9rocsparseL15scale_2d_kernelILj256EidEEvT0_S1_llNS_24const_host_device_scalarIT1_EEPS3_16rocsparse_order_b, .Lfunc_end65-_ZN9rocsparseL15scale_2d_kernelILj256EidEEvT0_S1_llNS_24const_host_device_scalarIT1_EEPS3_16rocsparse_order_b
                                        ; -- End function
	.set _ZN9rocsparseL15scale_2d_kernelILj256EidEEvT0_S1_llNS_24const_host_device_scalarIT1_EEPS3_16rocsparse_order_b.num_vgpr, 8
	.set _ZN9rocsparseL15scale_2d_kernelILj256EidEEvT0_S1_llNS_24const_host_device_scalarIT1_EEPS3_16rocsparse_order_b.num_agpr, 0
	.set _ZN9rocsparseL15scale_2d_kernelILj256EidEEvT0_S1_llNS_24const_host_device_scalarIT1_EEPS3_16rocsparse_order_b.numbered_sgpr, 9
	.set _ZN9rocsparseL15scale_2d_kernelILj256EidEEvT0_S1_llNS_24const_host_device_scalarIT1_EEPS3_16rocsparse_order_b.num_named_barrier, 0
	.set _ZN9rocsparseL15scale_2d_kernelILj256EidEEvT0_S1_llNS_24const_host_device_scalarIT1_EEPS3_16rocsparse_order_b.private_seg_size, 0
	.set _ZN9rocsparseL15scale_2d_kernelILj256EidEEvT0_S1_llNS_24const_host_device_scalarIT1_EEPS3_16rocsparse_order_b.uses_vcc, 1
	.set _ZN9rocsparseL15scale_2d_kernelILj256EidEEvT0_S1_llNS_24const_host_device_scalarIT1_EEPS3_16rocsparse_order_b.uses_flat_scratch, 0
	.set _ZN9rocsparseL15scale_2d_kernelILj256EidEEvT0_S1_llNS_24const_host_device_scalarIT1_EEPS3_16rocsparse_order_b.has_dyn_sized_stack, 0
	.set _ZN9rocsparseL15scale_2d_kernelILj256EidEEvT0_S1_llNS_24const_host_device_scalarIT1_EEPS3_16rocsparse_order_b.has_recursion, 0
	.set _ZN9rocsparseL15scale_2d_kernelILj256EidEEvT0_S1_llNS_24const_host_device_scalarIT1_EEPS3_16rocsparse_order_b.has_indirect_call, 0
	.section	.AMDGPU.csdata,"",@progbits
; Kernel info:
; codeLenInByte = 544
; TotalNumSgprs: 11
; NumVgprs: 8
; ScratchSize: 0
; MemoryBound: 1
; FloatMode: 240
; IeeeMode: 1
; LDSByteSize: 0 bytes/workgroup (compile time only)
; SGPRBlocks: 0
; VGPRBlocks: 0
; NumSGPRsForWavesPerEU: 11
; NumVGPRsForWavesPerEU: 8
; NamedBarCnt: 0
; Occupancy: 16
; WaveLimiterHint : 0
; COMPUTE_PGM_RSRC2:SCRATCH_EN: 0
; COMPUTE_PGM_RSRC2:USER_SGPR: 2
; COMPUTE_PGM_RSRC2:TRAP_HANDLER: 0
; COMPUTE_PGM_RSRC2:TGID_X_EN: 1
; COMPUTE_PGM_RSRC2:TGID_Y_EN: 1
; COMPUTE_PGM_RSRC2:TGID_Z_EN: 0
; COMPUTE_PGM_RSRC2:TIDIG_COMP_CNT: 0
	.section	.text._ZN9rocsparseL15scale_2d_kernelILj256Ei21rocsparse_complex_numIfEEEvT0_S3_llNS_24const_host_device_scalarIT1_EEPS5_16rocsparse_order_b,"axG",@progbits,_ZN9rocsparseL15scale_2d_kernelILj256Ei21rocsparse_complex_numIfEEEvT0_S3_llNS_24const_host_device_scalarIT1_EEPS5_16rocsparse_order_b,comdat
	.globl	_ZN9rocsparseL15scale_2d_kernelILj256Ei21rocsparse_complex_numIfEEEvT0_S3_llNS_24const_host_device_scalarIT1_EEPS5_16rocsparse_order_b ; -- Begin function _ZN9rocsparseL15scale_2d_kernelILj256Ei21rocsparse_complex_numIfEEEvT0_S3_llNS_24const_host_device_scalarIT1_EEPS5_16rocsparse_order_b
	.p2align	8
	.type	_ZN9rocsparseL15scale_2d_kernelILj256Ei21rocsparse_complex_numIfEEEvT0_S3_llNS_24const_host_device_scalarIT1_EEPS5_16rocsparse_order_b,@function
_ZN9rocsparseL15scale_2d_kernelILj256Ei21rocsparse_complex_numIfEEEvT0_S3_llNS_24const_host_device_scalarIT1_EEPS5_16rocsparse_order_b: ; @_ZN9rocsparseL15scale_2d_kernelILj256Ei21rocsparse_complex_numIfEEEvT0_S3_llNS_24const_host_device_scalarIT1_EEPS5_16rocsparse_order_b
; %bb.0:
	s_clause 0x1
	s_load_b64 s[4:5], s[0:1], 0x28
	s_load_b64 s[2:3], s[0:1], 0x18
	v_mov_b32_e32 v1, 0
	s_add_nc_u64 s[6:7], s[0:1], 24
	s_wait_kmcnt 0x0
	s_bitcmp1_b32 s5, 0
	s_cselect_b32 s3, s7, s3
	s_cselect_b32 s2, s6, s2
	flat_load_b64 v[2:3], v1, s[2:3]
	s_wait_loadcnt_dscnt 0x0
	v_cmp_neq_f32_e32 vcc_lo, 1.0, v2
	v_cmp_neq_f32_e64 s2, 0, v3
	s_or_b32 s2, vcc_lo, s2
	s_delay_alu instid0(SALU_CYCLE_1)
	s_and_saveexec_b32 s3, s2
	s_cbranch_execz .LBB66_6
; %bb.1:
	s_load_b64 s[2:3], s[0:1], 0x0
	s_bfe_u32 s5, ttmp6, 0x4000c
	s_and_b32 s6, ttmp6, 15
	s_add_co_i32 s5, s5, 1
	s_delay_alu instid0(SALU_CYCLE_1) | instskip(SKIP_4) | instid1(SALU_CYCLE_1)
	s_mul_i32 s7, ttmp9, s5
	s_getreg_b32 s5, hwreg(HW_REG_IB_STS2, 6, 4)
	s_add_co_i32 s6, s6, s7
	s_cmp_eq_u32 s5, 0
	s_cselect_b32 s6, ttmp9, s6
	v_lshl_or_b32 v0, s6, 8, v0
	s_wait_kmcnt 0x0
	s_mul_i32 s6, s3, s2
	s_delay_alu instid0(VALU_DEP_1) | instid1(SALU_CYCLE_1)
	v_cmp_gt_i32_e32 vcc_lo, s6, v0
	s_and_b32 exec_lo, exec_lo, vcc_lo
	s_cbranch_execz .LBB66_6
; %bb.2:
	s_cmp_eq_u32 s4, 1
	s_load_b128 s[8:11], s[0:1], 0x8
	s_cselect_b32 s4, s2, s3
	s_delay_alu instid0(SALU_CYCLE_1) | instskip(NEXT) | instid1(SALU_CYCLE_1)
	s_abs_i32 s2, s4
	s_cvt_f32_u32 s3, s2
	s_sub_co_i32 s6, 0, s2
	s_delay_alu instid0(SALU_CYCLE_2) | instskip(SKIP_1) | instid1(TRANS32_DEP_1)
	v_rcp_iflag_f32_e32 v1, s3
	v_nop
	v_readfirstlane_b32 s3, v1
	v_sub_nc_u32_e32 v1, 0, v0
	s_mul_f32 s3, s3, 0x4f7ffffe
	s_delay_alu instid0(VALU_DEP_1) | instskip(NEXT) | instid1(SALU_CYCLE_2)
	v_max_i32_e32 v1, v0, v1
	s_cvt_u32_f32 s3, s3
	s_delay_alu instid0(SALU_CYCLE_3) | instskip(NEXT) | instid1(SALU_CYCLE_1)
	s_mul_i32 s6, s6, s3
	s_mul_hi_u32 s6, s3, s6
	s_delay_alu instid0(SALU_CYCLE_1) | instskip(NEXT) | instid1(SALU_CYCLE_1)
	s_add_co_i32 s3, s3, s6
	v_mul_hi_u32 v4, v1, s3
	s_delay_alu instid0(VALU_DEP_1) | instskip(NEXT) | instid1(VALU_DEP_1)
	v_mul_lo_u32 v5, v4, s2
	v_dual_sub_nc_u32 v1, v1, v5 :: v_dual_add_nc_u32 v5, 1, v4
	s_delay_alu instid0(VALU_DEP_1) | instskip(NEXT) | instid1(VALU_DEP_2)
	v_cmp_le_u32_e32 vcc_lo, s2, v1
	v_dual_cndmask_b32 v4, v4, v5, vcc_lo :: v_dual_bitop2_b32 v5, s4, v0 bitop3:0x14
	v_subrev_nc_u32_e32 v6, s2, v1
	s_delay_alu instid0(VALU_DEP_1) | instskip(NEXT) | instid1(VALU_DEP_1)
	v_dual_cndmask_b32 v1, v1, v6 :: v_dual_add_nc_u32 v6, 1, v4
	v_cmp_le_u32_e32 vcc_lo, s2, v1
	s_delay_alu instid0(VALU_DEP_4)
	v_ashrrev_i32_e32 v5, 31, v5
	s_load_b64 s[2:3], s[0:1], 0x20
	s_wait_xcnt 0x0
	v_cmp_neq_f32_e64 s0, 0, v3
	s_bfe_u32 s1, ttmp6, 0x40010
	v_cndmask_b32_e32 v1, v4, v6, vcc_lo
	v_cmp_neq_f32_e32 vcc_lo, 0, v2
	s_add_co_i32 s1, s1, 1
	s_delay_alu instid0(VALU_DEP_2) | instskip(NEXT) | instid1(VALU_DEP_1)
	v_xor_b32_e32 v1, v1, v5
	v_sub_nc_u32_e32 v4, v1, v5
	s_delay_alu instid0(VALU_DEP_1) | instskip(SKIP_3) | instid1(SALU_CYCLE_1)
	v_mul_lo_u32 v1, v4, s4
	s_or_b32 s4, vcc_lo, s0
	s_mul_i32 s0, ttmp7, s1
	s_bfe_u32 s1, ttmp6, 0x40004
	s_add_co_i32 s1, s1, s0
	s_cmp_eq_u32 s5, 0
	s_cselect_b32 s0, ttmp7, s1
	s_delay_alu instid0(SALU_CYCLE_1) | instskip(NEXT) | instid1(VALU_DEP_1)
	s_ashr_i32 s1, s0, 31
	v_sub_nc_u32_e32 v0, v0, v1
	s_wait_kmcnt 0x0
	s_mul_u64 s[0:1], s[10:11], s[0:1]
	s_delay_alu instid0(VALU_DEP_1) | instskip(SKIP_1) | instid1(VALU_DEP_1)
	v_ashrrev_i32_e32 v1, 31, v0
	v_ashrrev_i32_e32 v5, 31, v4
	v_mul_u64_e32 v[6:7], s[8:9], v[4:5]
	s_delay_alu instid0(VALU_DEP_1) | instskip(NEXT) | instid1(VALU_DEP_1)
	v_lshl_add_u64 v[4:5], v[6:7], 3, s[2:3]
	v_lshl_add_u64 v[0:1], v[0:1], 3, v[4:5]
	s_delay_alu instid0(VALU_DEP_1) | instskip(SKIP_1) | instid1(SALU_CYCLE_1)
	v_lshl_add_u64 v[0:1], s[0:1], 3, v[0:1]
	s_and_saveexec_b32 s0, s4
	s_xor_b32 s0, exec_lo, s0
	s_cbranch_execz .LBB66_4
; %bb.3:
	global_load_b64 v[4:5], v[0:1], off
	v_mov_b32_e32 v6, v3
	s_wait_loadcnt 0x0
	s_delay_alu instid0(VALU_DEP_1) | instskip(NEXT) | instid1(VALU_DEP_1)
	v_pk_mul_f32 v[6:7], v[6:7], v[4:5] op_sel:[0,1] op_sel_hi:[0,0] neg_lo:[0,1]
	v_pk_fma_f32 v[2:3], v[4:5], v[2:3], v[6:7] op_sel_hi:[1,0,1]
	global_store_b64 v[0:1], v[2:3], off
                                        ; implicit-def: $vgpr0_vgpr1
.LBB66_4:
	s_wait_xcnt 0x0
	s_and_not1_saveexec_b32 s0, s0
	s_cbranch_execz .LBB66_6
; %bb.5:
	v_mov_b64_e32 v[2:3], 0
	global_store_b64 v[0:1], v[2:3], off
.LBB66_6:
	s_endpgm
	.section	.rodata,"a",@progbits
	.p2align	6, 0x0
	.amdhsa_kernel _ZN9rocsparseL15scale_2d_kernelILj256Ei21rocsparse_complex_numIfEEEvT0_S3_llNS_24const_host_device_scalarIT1_EEPS5_16rocsparse_order_b
		.amdhsa_group_segment_fixed_size 0
		.amdhsa_private_segment_fixed_size 0
		.amdhsa_kernarg_size 48
		.amdhsa_user_sgpr_count 2
		.amdhsa_user_sgpr_dispatch_ptr 0
		.amdhsa_user_sgpr_queue_ptr 0
		.amdhsa_user_sgpr_kernarg_segment_ptr 1
		.amdhsa_user_sgpr_dispatch_id 0
		.amdhsa_user_sgpr_kernarg_preload_length 0
		.amdhsa_user_sgpr_kernarg_preload_offset 0
		.amdhsa_user_sgpr_private_segment_size 0
		.amdhsa_wavefront_size32 1
		.amdhsa_uses_dynamic_stack 0
		.amdhsa_enable_private_segment 0
		.amdhsa_system_sgpr_workgroup_id_x 1
		.amdhsa_system_sgpr_workgroup_id_y 1
		.amdhsa_system_sgpr_workgroup_id_z 0
		.amdhsa_system_sgpr_workgroup_info 0
		.amdhsa_system_vgpr_workitem_id 0
		.amdhsa_next_free_vgpr 8
		.amdhsa_next_free_sgpr 12
		.amdhsa_named_barrier_count 0
		.amdhsa_reserve_vcc 1
		.amdhsa_float_round_mode_32 0
		.amdhsa_float_round_mode_16_64 0
		.amdhsa_float_denorm_mode_32 3
		.amdhsa_float_denorm_mode_16_64 3
		.amdhsa_fp16_overflow 0
		.amdhsa_memory_ordered 1
		.amdhsa_forward_progress 1
		.amdhsa_inst_pref_size 5
		.amdhsa_round_robin_scheduling 0
		.amdhsa_exception_fp_ieee_invalid_op 0
		.amdhsa_exception_fp_denorm_src 0
		.amdhsa_exception_fp_ieee_div_zero 0
		.amdhsa_exception_fp_ieee_overflow 0
		.amdhsa_exception_fp_ieee_underflow 0
		.amdhsa_exception_fp_ieee_inexact 0
		.amdhsa_exception_int_div_zero 0
	.end_amdhsa_kernel
	.section	.text._ZN9rocsparseL15scale_2d_kernelILj256Ei21rocsparse_complex_numIfEEEvT0_S3_llNS_24const_host_device_scalarIT1_EEPS5_16rocsparse_order_b,"axG",@progbits,_ZN9rocsparseL15scale_2d_kernelILj256Ei21rocsparse_complex_numIfEEEvT0_S3_llNS_24const_host_device_scalarIT1_EEPS5_16rocsparse_order_b,comdat
.Lfunc_end66:
	.size	_ZN9rocsparseL15scale_2d_kernelILj256Ei21rocsparse_complex_numIfEEEvT0_S3_llNS_24const_host_device_scalarIT1_EEPS5_16rocsparse_order_b, .Lfunc_end66-_ZN9rocsparseL15scale_2d_kernelILj256Ei21rocsparse_complex_numIfEEEvT0_S3_llNS_24const_host_device_scalarIT1_EEPS5_16rocsparse_order_b
                                        ; -- End function
	.set _ZN9rocsparseL15scale_2d_kernelILj256Ei21rocsparse_complex_numIfEEEvT0_S3_llNS_24const_host_device_scalarIT1_EEPS5_16rocsparse_order_b.num_vgpr, 8
	.set _ZN9rocsparseL15scale_2d_kernelILj256Ei21rocsparse_complex_numIfEEEvT0_S3_llNS_24const_host_device_scalarIT1_EEPS5_16rocsparse_order_b.num_agpr, 0
	.set _ZN9rocsparseL15scale_2d_kernelILj256Ei21rocsparse_complex_numIfEEEvT0_S3_llNS_24const_host_device_scalarIT1_EEPS5_16rocsparse_order_b.numbered_sgpr, 12
	.set _ZN9rocsparseL15scale_2d_kernelILj256Ei21rocsparse_complex_numIfEEEvT0_S3_llNS_24const_host_device_scalarIT1_EEPS5_16rocsparse_order_b.num_named_barrier, 0
	.set _ZN9rocsparseL15scale_2d_kernelILj256Ei21rocsparse_complex_numIfEEEvT0_S3_llNS_24const_host_device_scalarIT1_EEPS5_16rocsparse_order_b.private_seg_size, 0
	.set _ZN9rocsparseL15scale_2d_kernelILj256Ei21rocsparse_complex_numIfEEEvT0_S3_llNS_24const_host_device_scalarIT1_EEPS5_16rocsparse_order_b.uses_vcc, 1
	.set _ZN9rocsparseL15scale_2d_kernelILj256Ei21rocsparse_complex_numIfEEEvT0_S3_llNS_24const_host_device_scalarIT1_EEPS5_16rocsparse_order_b.uses_flat_scratch, 0
	.set _ZN9rocsparseL15scale_2d_kernelILj256Ei21rocsparse_complex_numIfEEEvT0_S3_llNS_24const_host_device_scalarIT1_EEPS5_16rocsparse_order_b.has_dyn_sized_stack, 0
	.set _ZN9rocsparseL15scale_2d_kernelILj256Ei21rocsparse_complex_numIfEEEvT0_S3_llNS_24const_host_device_scalarIT1_EEPS5_16rocsparse_order_b.has_recursion, 0
	.set _ZN9rocsparseL15scale_2d_kernelILj256Ei21rocsparse_complex_numIfEEEvT0_S3_llNS_24const_host_device_scalarIT1_EEPS5_16rocsparse_order_b.has_indirect_call, 0
	.section	.AMDGPU.csdata,"",@progbits
; Kernel info:
; codeLenInByte = 596
; TotalNumSgprs: 14
; NumVgprs: 8
; ScratchSize: 0
; MemoryBound: 0
; FloatMode: 240
; IeeeMode: 1
; LDSByteSize: 0 bytes/workgroup (compile time only)
; SGPRBlocks: 0
; VGPRBlocks: 0
; NumSGPRsForWavesPerEU: 14
; NumVGPRsForWavesPerEU: 8
; NamedBarCnt: 0
; Occupancy: 16
; WaveLimiterHint : 0
; COMPUTE_PGM_RSRC2:SCRATCH_EN: 0
; COMPUTE_PGM_RSRC2:USER_SGPR: 2
; COMPUTE_PGM_RSRC2:TRAP_HANDLER: 0
; COMPUTE_PGM_RSRC2:TGID_X_EN: 1
; COMPUTE_PGM_RSRC2:TGID_Y_EN: 1
; COMPUTE_PGM_RSRC2:TGID_Z_EN: 0
; COMPUTE_PGM_RSRC2:TIDIG_COMP_CNT: 0
	.section	.text._ZN9rocsparseL15scale_2d_kernelILj256Ei21rocsparse_complex_numIdEEEvT0_S3_llNS_24const_host_device_scalarIT1_EEPS5_16rocsparse_order_b,"axG",@progbits,_ZN9rocsparseL15scale_2d_kernelILj256Ei21rocsparse_complex_numIdEEEvT0_S3_llNS_24const_host_device_scalarIT1_EEPS5_16rocsparse_order_b,comdat
	.globl	_ZN9rocsparseL15scale_2d_kernelILj256Ei21rocsparse_complex_numIdEEEvT0_S3_llNS_24const_host_device_scalarIT1_EEPS5_16rocsparse_order_b ; -- Begin function _ZN9rocsparseL15scale_2d_kernelILj256Ei21rocsparse_complex_numIdEEEvT0_S3_llNS_24const_host_device_scalarIT1_EEPS5_16rocsparse_order_b
	.p2align	8
	.type	_ZN9rocsparseL15scale_2d_kernelILj256Ei21rocsparse_complex_numIdEEEvT0_S3_llNS_24const_host_device_scalarIT1_EEPS5_16rocsparse_order_b,@function
_ZN9rocsparseL15scale_2d_kernelILj256Ei21rocsparse_complex_numIdEEEvT0_S3_llNS_24const_host_device_scalarIT1_EEPS5_16rocsparse_order_b: ; @_ZN9rocsparseL15scale_2d_kernelILj256Ei21rocsparse_complex_numIdEEEvT0_S3_llNS_24const_host_device_scalarIT1_EEPS5_16rocsparse_order_b
; %bb.0:
	s_clause 0x1
	s_load_b64 s[4:5], s[0:1], 0x30
	s_load_b64 s[2:3], s[0:1], 0x18
	v_mov_b32_e32 v1, 0
	s_add_nc_u64 s[6:7], s[0:1], 24
	s_wait_kmcnt 0x0
	s_bitcmp1_b32 s5, 0
	s_cselect_b32 s3, s7, s3
	s_cselect_b32 s2, s6, s2
	flat_load_b128 v[2:5], v1, s[2:3]
	s_wait_loadcnt_dscnt 0x0
	v_cmp_neq_f64_e32 vcc_lo, 1.0, v[2:3]
	v_cmp_neq_f64_e64 s2, 0, v[4:5]
	s_or_b32 s2, vcc_lo, s2
	s_delay_alu instid0(SALU_CYCLE_1)
	s_and_saveexec_b32 s3, s2
	s_cbranch_execz .LBB67_5
; %bb.1:
	s_load_b64 s[2:3], s[0:1], 0x0
	s_bfe_u32 s5, ttmp6, 0x4000c
	s_and_b32 s6, ttmp6, 15
	s_add_co_i32 s5, s5, 1
	s_delay_alu instid0(SALU_CYCLE_1) | instskip(SKIP_4) | instid1(SALU_CYCLE_1)
	s_mul_i32 s7, ttmp9, s5
	s_getreg_b32 s5, hwreg(HW_REG_IB_STS2, 6, 4)
	s_add_co_i32 s6, s6, s7
	s_cmp_eq_u32 s5, 0
	s_cselect_b32 s6, ttmp9, s6
	v_lshl_or_b32 v0, s6, 8, v0
	s_wait_kmcnt 0x0
	s_mul_i32 s6, s3, s2
	s_delay_alu instid0(VALU_DEP_1) | instid1(SALU_CYCLE_1)
	v_cmp_gt_i32_e32 vcc_lo, s6, v0
	s_and_b32 exec_lo, exec_lo, vcc_lo
	s_cbranch_execz .LBB67_5
; %bb.2:
	s_cmp_eq_u32 s4, 1
	s_load_b128 s[8:11], s[0:1], 0x8
	s_cselect_b32 s3, s2, s3
	s_wait_xcnt 0x0
	s_load_b64 s[0:1], s[0:1], 0x28
	s_abs_i32 s2, s3
	s_delay_alu instid0(SALU_CYCLE_1) | instskip(SKIP_1) | instid1(SALU_CYCLE_2)
	s_cvt_f32_u32 s4, s2
	s_sub_co_i32 s6, 0, s2
	v_rcp_iflag_f32_e32 v1, s4
	v_nop
	s_delay_alu instid0(TRANS32_DEP_1) | instskip(SKIP_2) | instid1(VALU_DEP_1)
	v_readfirstlane_b32 s4, v1
	v_sub_nc_u32_e32 v1, 0, v0
	s_mul_f32 s4, s4, 0x4f7ffffe
	v_max_i32_e32 v1, v0, v1
	s_delay_alu instid0(SALU_CYCLE_2) | instskip(NEXT) | instid1(SALU_CYCLE_3)
	s_cvt_u32_f32 s4, s4
	s_mul_i32 s6, s6, s4
	s_delay_alu instid0(SALU_CYCLE_1) | instskip(NEXT) | instid1(SALU_CYCLE_1)
	s_mul_hi_u32 s6, s4, s6
	s_add_co_i32 s4, s4, s6
	s_delay_alu instid0(SALU_CYCLE_1) | instskip(SKIP_1) | instid1(VALU_DEP_1)
	v_mul_hi_u32 v6, v1, s4
	s_bfe_u32 s4, ttmp6, 0x40004
	v_mul_lo_u32 v7, v6, s2
	s_delay_alu instid0(VALU_DEP_1) | instskip(NEXT) | instid1(VALU_DEP_1)
	v_dual_sub_nc_u32 v1, v1, v7 :: v_dual_add_nc_u32 v7, 1, v6
	v_cmp_le_u32_e32 vcc_lo, s2, v1
	s_delay_alu instid0(VALU_DEP_2) | instskip(SKIP_1) | instid1(VALU_DEP_1)
	v_dual_cndmask_b32 v6, v6, v7, vcc_lo :: v_dual_bitop2_b32 v7, s3, v0 bitop3:0x14
	v_subrev_nc_u32_e32 v8, s2, v1
	v_dual_cndmask_b32 v1, v1, v8 :: v_dual_add_nc_u32 v8, 1, v6
	s_delay_alu instid0(VALU_DEP_1) | instskip(NEXT) | instid1(VALU_DEP_4)
	v_cmp_le_u32_e32 vcc_lo, s2, v1
	v_ashrrev_i32_e32 v7, 31, v7
	v_cmp_neq_f64_e64 s2, 0, v[4:5]
	s_delay_alu instid0(VALU_DEP_4) | instskip(SKIP_1) | instid1(VALU_DEP_2)
	v_cndmask_b32_e32 v1, v6, v8, vcc_lo
	v_cmp_neq_f64_e32 vcc_lo, 0, v[2:3]
	v_xor_b32_e32 v1, v1, v7
	s_delay_alu instid0(VALU_DEP_1) | instskip(NEXT) | instid1(VALU_DEP_1)
	v_sub_nc_u32_e32 v6, v1, v7
	v_mul_lo_u32 v1, v6, s3
	s_bfe_u32 s3, ttmp6, 0x40010
	s_delay_alu instid0(SALU_CYCLE_1) | instskip(NEXT) | instid1(SALU_CYCLE_1)
	s_add_co_i32 s3, s3, 1
	s_mul_i32 s3, ttmp7, s3
	s_delay_alu instid0(SALU_CYCLE_1) | instskip(NEXT) | instid1(VALU_DEP_1)
	s_add_co_i32 s4, s4, s3
	v_dual_sub_nc_u32 v0, v0, v1 :: v_dual_ashrrev_i32 v7, 31, v6
	s_delay_alu instid0(VALU_DEP_1) | instskip(SKIP_1) | instid1(VALU_DEP_2)
	v_ashrrev_i32_e32 v1, 31, v0
	s_wait_kmcnt 0x0
	v_mul_u64_e32 v[8:9], s[8:9], v[6:7]
	s_or_b32 s2, vcc_lo, s2
	s_cmp_eq_u32 s5, 0
	s_delay_alu instid0(VALU_DEP_1) | instskip(SKIP_3) | instid1(VALU_DEP_2)
	v_lshl_add_u64 v[6:7], v[8:9], 4, s[0:1]
	s_cselect_b32 s0, ttmp7, s4
	v_mov_b64_e32 v[8:9], 0
	s_ashr_i32 s1, s0, 31
	v_lshl_add_u64 v[0:1], v[0:1], 4, v[6:7]
	v_mov_b64_e32 v[6:7], 0
	s_mul_u64 s[0:1], s[10:11], s[0:1]
	s_delay_alu instid0(VALU_DEP_2) | instid1(SALU_CYCLE_1)
	v_lshl_add_u64 v[0:1], s[0:1], 4, v[0:1]
	s_and_saveexec_b32 s0, s2
	s_cbranch_execz .LBB67_4
; %bb.3:
	global_load_b128 v[10:13], v[0:1], off
	s_wait_loadcnt 0x0
	v_mul_f64_e64 v[6:7], v[4:5], -v[12:13]
	v_mul_f64_e32 v[8:9], v[4:5], v[10:11]
	s_delay_alu instid0(VALU_DEP_2) | instskip(NEXT) | instid1(VALU_DEP_2)
	v_fmac_f64_e32 v[6:7], v[10:11], v[2:3]
	v_fmac_f64_e32 v[8:9], v[12:13], v[2:3]
.LBB67_4:
	s_or_b32 exec_lo, exec_lo, s0
	global_store_b128 v[0:1], v[6:9], off
.LBB67_5:
	s_endpgm
	.section	.rodata,"a",@progbits
	.p2align	6, 0x0
	.amdhsa_kernel _ZN9rocsparseL15scale_2d_kernelILj256Ei21rocsparse_complex_numIdEEEvT0_S3_llNS_24const_host_device_scalarIT1_EEPS5_16rocsparse_order_b
		.amdhsa_group_segment_fixed_size 0
		.amdhsa_private_segment_fixed_size 0
		.amdhsa_kernarg_size 56
		.amdhsa_user_sgpr_count 2
		.amdhsa_user_sgpr_dispatch_ptr 0
		.amdhsa_user_sgpr_queue_ptr 0
		.amdhsa_user_sgpr_kernarg_segment_ptr 1
		.amdhsa_user_sgpr_dispatch_id 0
		.amdhsa_user_sgpr_kernarg_preload_length 0
		.amdhsa_user_sgpr_kernarg_preload_offset 0
		.amdhsa_user_sgpr_private_segment_size 0
		.amdhsa_wavefront_size32 1
		.amdhsa_uses_dynamic_stack 0
		.amdhsa_enable_private_segment 0
		.amdhsa_system_sgpr_workgroup_id_x 1
		.amdhsa_system_sgpr_workgroup_id_y 1
		.amdhsa_system_sgpr_workgroup_id_z 0
		.amdhsa_system_sgpr_workgroup_info 0
		.amdhsa_system_vgpr_workitem_id 0
		.amdhsa_next_free_vgpr 14
		.amdhsa_next_free_sgpr 12
		.amdhsa_named_barrier_count 0
		.amdhsa_reserve_vcc 1
		.amdhsa_float_round_mode_32 0
		.amdhsa_float_round_mode_16_64 0
		.amdhsa_float_denorm_mode_32 3
		.amdhsa_float_denorm_mode_16_64 3
		.amdhsa_fp16_overflow 0
		.amdhsa_memory_ordered 1
		.amdhsa_forward_progress 1
		.amdhsa_inst_pref_size 5
		.amdhsa_round_robin_scheduling 0
		.amdhsa_exception_fp_ieee_invalid_op 0
		.amdhsa_exception_fp_denorm_src 0
		.amdhsa_exception_fp_ieee_div_zero 0
		.amdhsa_exception_fp_ieee_overflow 0
		.amdhsa_exception_fp_ieee_underflow 0
		.amdhsa_exception_fp_ieee_inexact 0
		.amdhsa_exception_int_div_zero 0
	.end_amdhsa_kernel
	.section	.text._ZN9rocsparseL15scale_2d_kernelILj256Ei21rocsparse_complex_numIdEEEvT0_S3_llNS_24const_host_device_scalarIT1_EEPS5_16rocsparse_order_b,"axG",@progbits,_ZN9rocsparseL15scale_2d_kernelILj256Ei21rocsparse_complex_numIdEEEvT0_S3_llNS_24const_host_device_scalarIT1_EEPS5_16rocsparse_order_b,comdat
.Lfunc_end67:
	.size	_ZN9rocsparseL15scale_2d_kernelILj256Ei21rocsparse_complex_numIdEEEvT0_S3_llNS_24const_host_device_scalarIT1_EEPS5_16rocsparse_order_b, .Lfunc_end67-_ZN9rocsparseL15scale_2d_kernelILj256Ei21rocsparse_complex_numIdEEEvT0_S3_llNS_24const_host_device_scalarIT1_EEPS5_16rocsparse_order_b
                                        ; -- End function
	.set _ZN9rocsparseL15scale_2d_kernelILj256Ei21rocsparse_complex_numIdEEEvT0_S3_llNS_24const_host_device_scalarIT1_EEPS5_16rocsparse_order_b.num_vgpr, 14
	.set _ZN9rocsparseL15scale_2d_kernelILj256Ei21rocsparse_complex_numIdEEEvT0_S3_llNS_24const_host_device_scalarIT1_EEPS5_16rocsparse_order_b.num_agpr, 0
	.set _ZN9rocsparseL15scale_2d_kernelILj256Ei21rocsparse_complex_numIdEEEvT0_S3_llNS_24const_host_device_scalarIT1_EEPS5_16rocsparse_order_b.numbered_sgpr, 12
	.set _ZN9rocsparseL15scale_2d_kernelILj256Ei21rocsparse_complex_numIdEEEvT0_S3_llNS_24const_host_device_scalarIT1_EEPS5_16rocsparse_order_b.num_named_barrier, 0
	.set _ZN9rocsparseL15scale_2d_kernelILj256Ei21rocsparse_complex_numIdEEEvT0_S3_llNS_24const_host_device_scalarIT1_EEPS5_16rocsparse_order_b.private_seg_size, 0
	.set _ZN9rocsparseL15scale_2d_kernelILj256Ei21rocsparse_complex_numIdEEEvT0_S3_llNS_24const_host_device_scalarIT1_EEPS5_16rocsparse_order_b.uses_vcc, 1
	.set _ZN9rocsparseL15scale_2d_kernelILj256Ei21rocsparse_complex_numIdEEEvT0_S3_llNS_24const_host_device_scalarIT1_EEPS5_16rocsparse_order_b.uses_flat_scratch, 0
	.set _ZN9rocsparseL15scale_2d_kernelILj256Ei21rocsparse_complex_numIdEEEvT0_S3_llNS_24const_host_device_scalarIT1_EEPS5_16rocsparse_order_b.has_dyn_sized_stack, 0
	.set _ZN9rocsparseL15scale_2d_kernelILj256Ei21rocsparse_complex_numIdEEEvT0_S3_llNS_24const_host_device_scalarIT1_EEPS5_16rocsparse_order_b.has_recursion, 0
	.set _ZN9rocsparseL15scale_2d_kernelILj256Ei21rocsparse_complex_numIdEEEvT0_S3_llNS_24const_host_device_scalarIT1_EEPS5_16rocsparse_order_b.has_indirect_call, 0
	.section	.AMDGPU.csdata,"",@progbits
; Kernel info:
; codeLenInByte = 580
; TotalNumSgprs: 14
; NumVgprs: 14
; ScratchSize: 0
; MemoryBound: 0
; FloatMode: 240
; IeeeMode: 1
; LDSByteSize: 0 bytes/workgroup (compile time only)
; SGPRBlocks: 0
; VGPRBlocks: 0
; NumSGPRsForWavesPerEU: 14
; NumVGPRsForWavesPerEU: 14
; NamedBarCnt: 0
; Occupancy: 16
; WaveLimiterHint : 0
; COMPUTE_PGM_RSRC2:SCRATCH_EN: 0
; COMPUTE_PGM_RSRC2:USER_SGPR: 2
; COMPUTE_PGM_RSRC2:TRAP_HANDLER: 0
; COMPUTE_PGM_RSRC2:TGID_X_EN: 1
; COMPUTE_PGM_RSRC2:TGID_Y_EN: 1
; COMPUTE_PGM_RSRC2:TGID_Z_EN: 0
; COMPUTE_PGM_RSRC2:TIDIG_COMP_CNT: 0
	.section	.text._ZN9rocsparseL15scale_2d_kernelILj256ElDF16_EEvT0_S1_llNS_24const_host_device_scalarIT1_EEPS3_16rocsparse_order_b,"axG",@progbits,_ZN9rocsparseL15scale_2d_kernelILj256ElDF16_EEvT0_S1_llNS_24const_host_device_scalarIT1_EEPS3_16rocsparse_order_b,comdat
	.globl	_ZN9rocsparseL15scale_2d_kernelILj256ElDF16_EEvT0_S1_llNS_24const_host_device_scalarIT1_EEPS3_16rocsparse_order_b ; -- Begin function _ZN9rocsparseL15scale_2d_kernelILj256ElDF16_EEvT0_S1_llNS_24const_host_device_scalarIT1_EEPS3_16rocsparse_order_b
	.p2align	8
	.type	_ZN9rocsparseL15scale_2d_kernelILj256ElDF16_EEvT0_S1_llNS_24const_host_device_scalarIT1_EEPS3_16rocsparse_order_b,@function
_ZN9rocsparseL15scale_2d_kernelILj256ElDF16_EEvT0_S1_llNS_24const_host_device_scalarIT1_EEPS3_16rocsparse_order_b: ; @_ZN9rocsparseL15scale_2d_kernelILj256ElDF16_EEvT0_S1_llNS_24const_host_device_scalarIT1_EEPS3_16rocsparse_order_b
; %bb.0:
	s_clause 0x1
	s_load_b64 s[2:3], s[0:1], 0x30
	s_load_b64 s[12:13], s[0:1], 0x20
	s_wait_kmcnt 0x0
	s_bitcmp1_b32 s3, 0
	s_cselect_b32 s3, -1, 0
	s_delay_alu instid0(SALU_CYCLE_1)
	s_and_b32 vcc_lo, exec_lo, s3
	s_cbranch_vccnz .LBB68_2
; %bb.1:
	v_mov_b32_e32 v1, 0
	global_load_u16 v1, v1, s[12:13]
	s_wait_loadcnt 0x0
	v_readfirstlane_b32 s12, v1
.LBB68_2:
	s_delay_alu instid0(VALU_DEP_1)
	s_cmp_eq_f16 s12, 0x3c00
	s_cbranch_scc1 .LBB68_12
; %bb.3:
	s_load_b256 s[4:11], s[0:1], 0x0
	s_bfe_u32 s3, ttmp6, 0x4000c
	s_and_b32 s14, ttmp6, 15
	s_add_co_i32 s3, s3, 1
	s_getreg_b32 s13, hwreg(HW_REG_IB_STS2, 6, 4)
	s_mul_i32 s3, ttmp9, s3
	v_mov_b32_e32 v1, 0
	s_add_co_i32 s14, s14, s3
	s_cmp_eq_u32 s13, 0
	s_cselect_b32 s3, ttmp9, s14
	s_delay_alu instid0(SALU_CYCLE_1)
	v_lshl_or_b32 v0, s3, 8, v0
	s_mov_b32 s3, exec_lo
	s_wait_kmcnt 0x0
	s_mul_u64 s[14:15], s[6:7], s[4:5]
	s_delay_alu instid0(VALU_DEP_1) | instid1(SALU_CYCLE_1)
	v_cmpx_gt_i64_e64 s[14:15], v[0:1]
	s_cbranch_execz .LBB68_12
; %bb.4:
	s_cmp_eq_u32 s2, 1
	s_cselect_b32 s5, s5, s7
	s_cselect_b32 s4, s4, s6
	s_delay_alu instid0(SALU_CYCLE_1) | instskip(NEXT) | instid1(SALU_CYCLE_1)
	s_and_b64 s[2:3], s[4:5], 0xffffffff00000000
	s_cmp_lg_u64 s[2:3], 0
	s_cbranch_scc0 .LBB68_9
; %bb.5:
	s_ashr_i32 s6, s5, 31
	v_add_nc_u64_e32 v[2:3], 0, v[0:1]
	s_mov_b32 s7, s6
	v_mov_b32_e32 v5, 0
	s_add_nc_u64 s[2:3], s[4:5], s[6:7]
	s_delay_alu instid0(SALU_CYCLE_1) | instskip(NEXT) | instid1(VALU_DEP_2)
	s_xor_b64 s[14:15], s[2:3], s[6:7]
	v_mov_b32_e32 v4, v2
	s_cvt_f32_u32 s2, s14
	s_cvt_f32_u32 s3, s15
	s_sub_nc_u64 s[18:19], 0, s[14:15]
	s_delay_alu instid0(SALU_CYCLE_2) | instskip(NEXT) | instid1(SALU_CYCLE_3)
	s_fmamk_f32 s2, s3, 0x4f800000, s2
	v_s_rcp_f32 s2, s2
	s_delay_alu instid0(TRANS32_DEP_1) | instskip(NEXT) | instid1(SALU_CYCLE_3)
	s_mul_f32 s2, s2, 0x5f7ffffc
	s_mul_f32 s3, s2, 0x2f800000
	s_delay_alu instid0(SALU_CYCLE_3) | instskip(NEXT) | instid1(SALU_CYCLE_3)
	s_trunc_f32 s3, s3
	s_fmamk_f32 s2, s3, 0xcf800000, s2
	s_cvt_u32_f32 s17, s3
	s_mov_b32 s3, 0
	s_delay_alu instid0(SALU_CYCLE_1) | instskip(NEXT) | instid1(SALU_CYCLE_3)
	s_cvt_u32_f32 s16, s2
	s_mul_u64 s[20:21], s[18:19], s[16:17]
	s_delay_alu instid0(SALU_CYCLE_1)
	s_mul_hi_u32 s23, s16, s21
	s_mul_i32 s22, s16, s21
	s_mul_hi_u32 s2, s16, s20
	s_mul_i32 s24, s17, s20
	s_add_nc_u64 s[22:23], s[2:3], s[22:23]
	s_mul_hi_u32 s7, s17, s20
	s_mul_hi_u32 s25, s17, s21
	s_add_co_u32 s2, s22, s24
	s_add_co_ci_u32 s2, s23, s7
	s_mul_i32 s20, s17, s21
	s_add_co_ci_u32 s21, s25, 0
	s_delay_alu instid0(SALU_CYCLE_1) | instskip(NEXT) | instid1(SALU_CYCLE_1)
	s_add_nc_u64 s[20:21], s[2:3], s[20:21]
	s_add_co_u32 s16, s16, s20
	s_cselect_b32 s2, -1, 0
	s_delay_alu instid0(SALU_CYCLE_1) | instskip(SKIP_1) | instid1(SALU_CYCLE_1)
	s_cmp_lg_u32 s2, 0
	s_add_co_ci_u32 s17, s17, s21
	s_mul_u64 s[18:19], s[18:19], s[16:17]
	s_delay_alu instid0(SALU_CYCLE_1)
	s_mul_hi_u32 s21, s16, s19
	s_mul_i32 s20, s16, s19
	s_mul_hi_u32 s2, s16, s18
	s_mul_i32 s22, s17, s18
	s_add_nc_u64 s[20:21], s[2:3], s[20:21]
	s_mul_hi_u32 s7, s17, s18
	s_mul_hi_u32 s23, s17, s19
	s_add_co_u32 s2, s20, s22
	s_add_co_ci_u32 s2, s21, s7
	s_mul_i32 s18, s17, s19
	s_add_co_ci_u32 s19, s23, 0
	s_delay_alu instid0(SALU_CYCLE_1) | instskip(NEXT) | instid1(SALU_CYCLE_1)
	s_add_nc_u64 s[18:19], s[2:3], s[18:19]
	s_add_co_u32 s16, s16, s18
	s_cselect_b32 s2, -1, 0
	s_delay_alu instid0(SALU_CYCLE_1)
	s_cmp_lg_u32 s2, 0
	s_add_co_ci_u32 s2, s17, s19
	s_mov_b64 s[18:19], 0xffffffff
	v_nop
	v_mul_u64_e32 v[6:7], s[2:3], v[4:5]
	v_mul_hi_u32 v4, v2, s16
	s_and_b64 s[16:17], s[16:17], s[18:19]
	s_delay_alu instid0(VALU_DEP_1) | instskip(SKIP_1) | instid1(VALU_DEP_1)
	v_add_nc_u64_e32 v[6:7], v[4:5], v[6:7]
	v_mov_b32_e32 v4, v3
	v_mul_u64_e32 v[8:9], s[16:17], v[4:5]
	v_mul_u64_e32 v[10:11], s[2:3], v[4:5]
	s_delay_alu instid0(VALU_DEP_2) | instskip(NEXT) | instid1(VALU_DEP_3)
	v_add_co_u32 v4, vcc_lo, v6, v8
	v_add_co_ci_u32_e32 v4, vcc_lo, v7, v9, vcc_lo
	s_delay_alu instid0(VALU_DEP_3) | instskip(NEXT) | instid1(VALU_DEP_1)
	v_add_co_ci_u32_e32 v11, vcc_lo, 0, v11, vcc_lo
	v_add_nc_u64_e32 v[4:5], v[4:5], v[10:11]
	s_delay_alu instid0(VALU_DEP_1) | instskip(NEXT) | instid1(VALU_DEP_1)
	v_mul_u64_e32 v[6:7], s[14:15], v[4:5]
	v_sub_nc_u32_e32 v8, v3, v7
	s_delay_alu instid0(VALU_DEP_2) | instskip(NEXT) | instid1(VALU_DEP_1)
	v_sub_co_u32 v2, vcc_lo, v2, v6
	v_sub_co_ci_u32_e64 v7, null, v3, v7, vcc_lo
	s_delay_alu instid0(VALU_DEP_3) | instskip(NEXT) | instid1(VALU_DEP_3)
	v_subrev_co_ci_u32_e64 v6, null, s15, v8, vcc_lo
	v_sub_co_u32 v10, s2, v2, s14
	v_cmp_le_u32_e32 vcc_lo, s14, v2
	s_delay_alu instid0(VALU_DEP_3) | instskip(NEXT) | instid1(VALU_DEP_3)
	v_subrev_co_ci_u32_e64 v6, null, 0, v6, s2
	v_cmp_le_u32_e64 s2, s14, v10
	v_add_nc_u64_e32 v[8:9], 2, v[4:5]
	v_cndmask_b32_e64 v12, 0, -1, vcc_lo
	s_delay_alu instid0(VALU_DEP_4) | instskip(SKIP_3) | instid1(VALU_DEP_1)
	v_cmp_eq_u32_e32 vcc_lo, s15, v6
	v_add_nc_u64_e32 v[2:3], 1, v[4:5]
	v_cndmask_b32_e64 v10, 0, -1, s2
	v_cmp_le_u32_e64 s2, s15, v6
	v_cndmask_b32_e64 v11, 0, -1, s2
	v_cmp_eq_u32_e64 s2, s15, v7
	s_delay_alu instid0(VALU_DEP_2) | instskip(SKIP_2) | instid1(VALU_DEP_3)
	v_cndmask_b32_e32 v6, v11, v10, vcc_lo
	v_cmp_le_u32_e32 vcc_lo, s15, v7
	v_cndmask_b32_e64 v10, 0, -1, vcc_lo
	v_cmp_ne_u32_e32 vcc_lo, 0, v6
	s_delay_alu instid0(VALU_DEP_2) | instskip(SKIP_1) | instid1(VALU_DEP_2)
	v_dual_cndmask_b32 v6, v10, v12, s2 :: v_dual_cndmask_b32 v3, v3, v9, vcc_lo
	v_cndmask_b32_e32 v2, v2, v8, vcc_lo
	v_cmp_ne_u32_e32 vcc_lo, 0, v6
	s_delay_alu instid0(VALU_DEP_2) | instskip(SKIP_1) | instid1(VALU_DEP_2)
	v_dual_cndmask_b32 v5, v5, v3 :: v_dual_cndmask_b32 v4, v4, v2
	v_dual_mov_b32 v3, s6 :: v_dual_mov_b32 v2, s6
	v_xor_b32_e32 v5, s6, v5
	s_delay_alu instid0(VALU_DEP_3) | instskip(NEXT) | instid1(VALU_DEP_1)
	v_xor_b32_e32 v4, s6, v4
	v_sub_nc_u64_e32 v[2:3], v[4:5], v[2:3]
	s_load_b64 s[0:1], s[0:1], 0x28
	s_cbranch_execnz .LBB68_7
.LBB68_6:
	v_cvt_f32_u32_e32 v2, s4
	s_sub_co_i32 s2, 0, s4
	s_delay_alu instid0(VALU_DEP_1) | instskip(SKIP_1) | instid1(TRANS32_DEP_1)
	v_rcp_iflag_f32_e32 v2, v2
	v_nop
	v_mul_f32_e32 v2, 0x4f7ffffe, v2
	s_delay_alu instid0(VALU_DEP_1) | instskip(NEXT) | instid1(VALU_DEP_1)
	v_cvt_u32_f32_e32 v2, v2
	v_mul_lo_u32 v3, s2, v2
	s_delay_alu instid0(VALU_DEP_1) | instskip(NEXT) | instid1(VALU_DEP_1)
	v_mul_hi_u32 v3, v2, v3
	v_add_nc_u32_e32 v2, v2, v3
	s_delay_alu instid0(VALU_DEP_1) | instskip(NEXT) | instid1(VALU_DEP_1)
	v_mul_hi_u32 v2, v0, v2
	v_mul_lo_u32 v3, v2, s4
	s_delay_alu instid0(VALU_DEP_1) | instskip(NEXT) | instid1(VALU_DEP_1)
	v_dual_add_nc_u32 v4, 1, v2 :: v_dual_sub_nc_u32 v3, v0, v3
	v_subrev_nc_u32_e32 v5, s4, v3
	v_cmp_le_u32_e32 vcc_lo, s4, v3
	s_delay_alu instid0(VALU_DEP_2) | instskip(NEXT) | instid1(VALU_DEP_1)
	v_dual_cndmask_b32 v3, v3, v5 :: v_dual_cndmask_b32 v2, v2, v4
	v_cmp_le_u32_e32 vcc_lo, s4, v3
	s_delay_alu instid0(VALU_DEP_2) | instskip(NEXT) | instid1(VALU_DEP_1)
	v_dual_mov_b32 v3, 0 :: v_dual_add_nc_u32 v4, 1, v2
	v_cndmask_b32_e32 v2, v2, v4, vcc_lo
.LBB68_7:
	s_delay_alu instid0(VALU_DEP_1) | instskip(SKIP_2) | instid1(SALU_CYCLE_1)
	v_mul_u64_e32 v[4:5], s[4:5], v[2:3]
	v_mul_u64_e32 v[2:3], s[8:9], v[2:3]
	s_bfe_u32 s2, ttmp6, 0x40010
	s_add_co_i32 s2, s2, 1
	s_delay_alu instid0(SALU_CYCLE_1) | instskip(NEXT) | instid1(VALU_DEP_2)
	s_mul_i32 s2, ttmp7, s2
	v_sub_nc_u64_e32 v[0:1], v[0:1], v[4:5]
	s_wait_kmcnt 0x0
	s_delay_alu instid0(VALU_DEP_1) | instskip(SKIP_4) | instid1(VALU_DEP_3)
	v_lshl_add_u64 v[0:1], v[0:1], 1, s[0:1]
	s_bfe_u32 s0, ttmp6, 0x40004
	s_mov_b32 s1, 0
	s_add_co_i32 s0, s0, s2
	s_cmp_eq_u32 s13, 0
	v_lshl_add_u64 v[0:1], v[2:3], 1, v[0:1]
	s_cselect_b32 s0, ttmp7, s0
	s_cmp_eq_f16 s12, 0
	s_mul_u64 s[0:1], s[10:11], s[0:1]
	s_delay_alu instid0(VALU_DEP_1) | instid1(SALU_CYCLE_1)
	v_lshl_add_u64 v[0:1], s[0:1], 1, v[0:1]
	s_cbranch_scc1 .LBB68_10
; %bb.8:
	global_load_u16 v2, v[0:1], off
	s_wait_loadcnt 0x0
	v_mul_f16_e32 v2, s12, v2
	s_branch .LBB68_11
.LBB68_9:
                                        ; implicit-def: $vgpr2_vgpr3
	s_load_b64 s[0:1], s[0:1], 0x28
	s_branch .LBB68_6
.LBB68_10:
	v_mov_b32_e32 v2, 0
.LBB68_11:
	global_store_b16 v[0:1], v2, off
.LBB68_12:
	s_endpgm
	.section	.rodata,"a",@progbits
	.p2align	6, 0x0
	.amdhsa_kernel _ZN9rocsparseL15scale_2d_kernelILj256ElDF16_EEvT0_S1_llNS_24const_host_device_scalarIT1_EEPS3_16rocsparse_order_b
		.amdhsa_group_segment_fixed_size 0
		.amdhsa_private_segment_fixed_size 0
		.amdhsa_kernarg_size 56
		.amdhsa_user_sgpr_count 2
		.amdhsa_user_sgpr_dispatch_ptr 0
		.amdhsa_user_sgpr_queue_ptr 0
		.amdhsa_user_sgpr_kernarg_segment_ptr 1
		.amdhsa_user_sgpr_dispatch_id 0
		.amdhsa_user_sgpr_kernarg_preload_length 0
		.amdhsa_user_sgpr_kernarg_preload_offset 0
		.amdhsa_user_sgpr_private_segment_size 0
		.amdhsa_wavefront_size32 1
		.amdhsa_uses_dynamic_stack 0
		.amdhsa_enable_private_segment 0
		.amdhsa_system_sgpr_workgroup_id_x 1
		.amdhsa_system_sgpr_workgroup_id_y 1
		.amdhsa_system_sgpr_workgroup_id_z 0
		.amdhsa_system_sgpr_workgroup_info 0
		.amdhsa_system_vgpr_workitem_id 0
		.amdhsa_next_free_vgpr 13
		.amdhsa_next_free_sgpr 26
		.amdhsa_named_barrier_count 0
		.amdhsa_reserve_vcc 1
		.amdhsa_float_round_mode_32 0
		.amdhsa_float_round_mode_16_64 0
		.amdhsa_float_denorm_mode_32 3
		.amdhsa_float_denorm_mode_16_64 3
		.amdhsa_fp16_overflow 0
		.amdhsa_memory_ordered 1
		.amdhsa_forward_progress 1
		.amdhsa_inst_pref_size 9
		.amdhsa_round_robin_scheduling 0
		.amdhsa_exception_fp_ieee_invalid_op 0
		.amdhsa_exception_fp_denorm_src 0
		.amdhsa_exception_fp_ieee_div_zero 0
		.amdhsa_exception_fp_ieee_overflow 0
		.amdhsa_exception_fp_ieee_underflow 0
		.amdhsa_exception_fp_ieee_inexact 0
		.amdhsa_exception_int_div_zero 0
	.end_amdhsa_kernel
	.section	.text._ZN9rocsparseL15scale_2d_kernelILj256ElDF16_EEvT0_S1_llNS_24const_host_device_scalarIT1_EEPS3_16rocsparse_order_b,"axG",@progbits,_ZN9rocsparseL15scale_2d_kernelILj256ElDF16_EEvT0_S1_llNS_24const_host_device_scalarIT1_EEPS3_16rocsparse_order_b,comdat
.Lfunc_end68:
	.size	_ZN9rocsparseL15scale_2d_kernelILj256ElDF16_EEvT0_S1_llNS_24const_host_device_scalarIT1_EEPS3_16rocsparse_order_b, .Lfunc_end68-_ZN9rocsparseL15scale_2d_kernelILj256ElDF16_EEvT0_S1_llNS_24const_host_device_scalarIT1_EEPS3_16rocsparse_order_b
                                        ; -- End function
	.set _ZN9rocsparseL15scale_2d_kernelILj256ElDF16_EEvT0_S1_llNS_24const_host_device_scalarIT1_EEPS3_16rocsparse_order_b.num_vgpr, 13
	.set _ZN9rocsparseL15scale_2d_kernelILj256ElDF16_EEvT0_S1_llNS_24const_host_device_scalarIT1_EEPS3_16rocsparse_order_b.num_agpr, 0
	.set _ZN9rocsparseL15scale_2d_kernelILj256ElDF16_EEvT0_S1_llNS_24const_host_device_scalarIT1_EEPS3_16rocsparse_order_b.numbered_sgpr, 26
	.set _ZN9rocsparseL15scale_2d_kernelILj256ElDF16_EEvT0_S1_llNS_24const_host_device_scalarIT1_EEPS3_16rocsparse_order_b.num_named_barrier, 0
	.set _ZN9rocsparseL15scale_2d_kernelILj256ElDF16_EEvT0_S1_llNS_24const_host_device_scalarIT1_EEPS3_16rocsparse_order_b.private_seg_size, 0
	.set _ZN9rocsparseL15scale_2d_kernelILj256ElDF16_EEvT0_S1_llNS_24const_host_device_scalarIT1_EEPS3_16rocsparse_order_b.uses_vcc, 1
	.set _ZN9rocsparseL15scale_2d_kernelILj256ElDF16_EEvT0_S1_llNS_24const_host_device_scalarIT1_EEPS3_16rocsparse_order_b.uses_flat_scratch, 0
	.set _ZN9rocsparseL15scale_2d_kernelILj256ElDF16_EEvT0_S1_llNS_24const_host_device_scalarIT1_EEPS3_16rocsparse_order_b.has_dyn_sized_stack, 0
	.set _ZN9rocsparseL15scale_2d_kernelILj256ElDF16_EEvT0_S1_llNS_24const_host_device_scalarIT1_EEPS3_16rocsparse_order_b.has_recursion, 0
	.set _ZN9rocsparseL15scale_2d_kernelILj256ElDF16_EEvT0_S1_llNS_24const_host_device_scalarIT1_EEPS3_16rocsparse_order_b.has_indirect_call, 0
	.section	.AMDGPU.csdata,"",@progbits
; Kernel info:
; codeLenInByte = 1088
; TotalNumSgprs: 28
; NumVgprs: 13
; ScratchSize: 0
; MemoryBound: 0
; FloatMode: 240
; IeeeMode: 1
; LDSByteSize: 0 bytes/workgroup (compile time only)
; SGPRBlocks: 0
; VGPRBlocks: 0
; NumSGPRsForWavesPerEU: 28
; NumVGPRsForWavesPerEU: 13
; NamedBarCnt: 0
; Occupancy: 16
; WaveLimiterHint : 0
; COMPUTE_PGM_RSRC2:SCRATCH_EN: 0
; COMPUTE_PGM_RSRC2:USER_SGPR: 2
; COMPUTE_PGM_RSRC2:TRAP_HANDLER: 0
; COMPUTE_PGM_RSRC2:TGID_X_EN: 1
; COMPUTE_PGM_RSRC2:TGID_Y_EN: 1
; COMPUTE_PGM_RSRC2:TGID_Z_EN: 0
; COMPUTE_PGM_RSRC2:TIDIG_COMP_CNT: 0
	.section	.text._ZN9rocsparseL15scale_2d_kernelILj256EliEEvT0_S1_llNS_24const_host_device_scalarIT1_EEPS3_16rocsparse_order_b,"axG",@progbits,_ZN9rocsparseL15scale_2d_kernelILj256EliEEvT0_S1_llNS_24const_host_device_scalarIT1_EEPS3_16rocsparse_order_b,comdat
	.globl	_ZN9rocsparseL15scale_2d_kernelILj256EliEEvT0_S1_llNS_24const_host_device_scalarIT1_EEPS3_16rocsparse_order_b ; -- Begin function _ZN9rocsparseL15scale_2d_kernelILj256EliEEvT0_S1_llNS_24const_host_device_scalarIT1_EEPS3_16rocsparse_order_b
	.p2align	8
	.type	_ZN9rocsparseL15scale_2d_kernelILj256EliEEvT0_S1_llNS_24const_host_device_scalarIT1_EEPS3_16rocsparse_order_b,@function
_ZN9rocsparseL15scale_2d_kernelILj256EliEEvT0_S1_llNS_24const_host_device_scalarIT1_EEPS3_16rocsparse_order_b: ; @_ZN9rocsparseL15scale_2d_kernelILj256EliEEvT0_S1_llNS_24const_host_device_scalarIT1_EEPS3_16rocsparse_order_b
; %bb.0:
	s_clause 0x1
	s_load_b64 s[2:3], s[0:1], 0x30
	s_load_b64 s[4:5], s[0:1], 0x20
	s_wait_kmcnt 0x0
	s_bitcmp0_b32 s3, 0
	s_mov_b32 s3, 0
	s_cbranch_scc0 .LBB69_2
; %bb.1:
	s_load_b32 s14, s[4:5], 0x0
	s_and_not1_b32 vcc_lo, exec_lo, s3
	s_cbranch_vccz .LBB69_3
	s_branch .LBB69_4
.LBB69_2:
                                        ; implicit-def: $sgpr14
.LBB69_3:
	s_wait_kmcnt 0x0
	s_mov_b32 s14, s4
.LBB69_4:
	s_wait_kmcnt 0x0
	s_cmp_eq_u32 s14, 1
	s_cbranch_scc1 .LBB69_14
; %bb.5:
	s_load_b256 s[4:11], s[0:1], 0x0
	s_bfe_u32 s3, ttmp6, 0x4000c
	s_and_b32 s12, ttmp6, 15
	s_add_co_i32 s3, s3, 1
	s_getreg_b32 s15, hwreg(HW_REG_IB_STS2, 6, 4)
	s_mul_i32 s3, ttmp9, s3
	v_mov_b32_e32 v1, 0
	s_add_co_i32 s12, s12, s3
	s_cmp_eq_u32 s15, 0
	s_cselect_b32 s3, ttmp9, s12
	s_delay_alu instid0(SALU_CYCLE_1)
	v_lshl_or_b32 v0, s3, 8, v0
	s_mov_b32 s3, exec_lo
	s_wait_kmcnt 0x0
	s_mul_u64 s[12:13], s[6:7], s[4:5]
	s_delay_alu instid0(VALU_DEP_1) | instid1(SALU_CYCLE_1)
	v_cmpx_gt_i64_e64 s[12:13], v[0:1]
	s_cbranch_execz .LBB69_14
; %bb.6:
	s_cmp_eq_u32 s2, 1
	s_cselect_b32 s5, s5, s7
	s_cselect_b32 s4, s4, s6
	s_delay_alu instid0(SALU_CYCLE_1) | instskip(NEXT) | instid1(SALU_CYCLE_1)
	s_and_b64 s[2:3], s[4:5], 0xffffffff00000000
	s_cmp_lg_u64 s[2:3], 0
	s_cbranch_scc0 .LBB69_11
; %bb.7:
	s_ashr_i32 s6, s5, 31
	v_add_nc_u64_e32 v[2:3], 0, v[0:1]
	s_mov_b32 s7, s6
	v_mov_b32_e32 v5, 0
	s_add_nc_u64 s[2:3], s[4:5], s[6:7]
	s_delay_alu instid0(SALU_CYCLE_1) | instskip(NEXT) | instid1(VALU_DEP_2)
	s_xor_b64 s[12:13], s[2:3], s[6:7]
	v_mov_b32_e32 v4, v2
	s_cvt_f32_u32 s2, s12
	s_cvt_f32_u32 s3, s13
	s_sub_nc_u64 s[18:19], 0, s[12:13]
	s_delay_alu instid0(SALU_CYCLE_2) | instskip(NEXT) | instid1(SALU_CYCLE_3)
	s_fmamk_f32 s2, s3, 0x4f800000, s2
	v_s_rcp_f32 s2, s2
	s_delay_alu instid0(TRANS32_DEP_1) | instskip(NEXT) | instid1(SALU_CYCLE_3)
	s_mul_f32 s2, s2, 0x5f7ffffc
	s_mul_f32 s3, s2, 0x2f800000
	s_delay_alu instid0(SALU_CYCLE_3) | instskip(NEXT) | instid1(SALU_CYCLE_3)
	s_trunc_f32 s3, s3
	s_fmamk_f32 s2, s3, 0xcf800000, s2
	s_cvt_u32_f32 s17, s3
	s_mov_b32 s3, 0
	s_delay_alu instid0(SALU_CYCLE_1) | instskip(NEXT) | instid1(SALU_CYCLE_3)
	s_cvt_u32_f32 s16, s2
	s_mul_u64 s[20:21], s[18:19], s[16:17]
	s_delay_alu instid0(SALU_CYCLE_1)
	s_mul_hi_u32 s23, s16, s21
	s_mul_i32 s22, s16, s21
	s_mul_hi_u32 s2, s16, s20
	s_mul_i32 s24, s17, s20
	s_add_nc_u64 s[22:23], s[2:3], s[22:23]
	s_mul_hi_u32 s7, s17, s20
	s_mul_hi_u32 s25, s17, s21
	s_add_co_u32 s2, s22, s24
	s_add_co_ci_u32 s2, s23, s7
	s_mul_i32 s20, s17, s21
	s_add_co_ci_u32 s21, s25, 0
	s_delay_alu instid0(SALU_CYCLE_1) | instskip(NEXT) | instid1(SALU_CYCLE_1)
	s_add_nc_u64 s[20:21], s[2:3], s[20:21]
	s_add_co_u32 s16, s16, s20
	s_cselect_b32 s2, -1, 0
	s_delay_alu instid0(SALU_CYCLE_1) | instskip(SKIP_1) | instid1(SALU_CYCLE_1)
	s_cmp_lg_u32 s2, 0
	s_add_co_ci_u32 s17, s17, s21
	s_mul_u64 s[18:19], s[18:19], s[16:17]
	s_delay_alu instid0(SALU_CYCLE_1)
	s_mul_hi_u32 s21, s16, s19
	s_mul_i32 s20, s16, s19
	s_mul_hi_u32 s2, s16, s18
	s_mul_i32 s22, s17, s18
	s_add_nc_u64 s[20:21], s[2:3], s[20:21]
	s_mul_hi_u32 s7, s17, s18
	s_mul_hi_u32 s23, s17, s19
	s_add_co_u32 s2, s20, s22
	s_add_co_ci_u32 s2, s21, s7
	s_mul_i32 s18, s17, s19
	s_add_co_ci_u32 s19, s23, 0
	s_delay_alu instid0(SALU_CYCLE_1) | instskip(NEXT) | instid1(SALU_CYCLE_1)
	s_add_nc_u64 s[18:19], s[2:3], s[18:19]
	s_add_co_u32 s16, s16, s18
	s_cselect_b32 s2, -1, 0
	s_delay_alu instid0(SALU_CYCLE_1)
	s_cmp_lg_u32 s2, 0
	s_add_co_ci_u32 s2, s17, s19
	s_mov_b64 s[18:19], 0xffffffff
	v_nop
	v_mul_u64_e32 v[6:7], s[2:3], v[4:5]
	v_mul_hi_u32 v4, v2, s16
	s_and_b64 s[16:17], s[16:17], s[18:19]
	s_delay_alu instid0(VALU_DEP_1) | instskip(SKIP_1) | instid1(VALU_DEP_1)
	v_add_nc_u64_e32 v[6:7], v[4:5], v[6:7]
	v_mov_b32_e32 v4, v3
	v_mul_u64_e32 v[8:9], s[16:17], v[4:5]
	v_mul_u64_e32 v[10:11], s[2:3], v[4:5]
	s_delay_alu instid0(VALU_DEP_2) | instskip(NEXT) | instid1(VALU_DEP_3)
	v_add_co_u32 v4, vcc_lo, v6, v8
	v_add_co_ci_u32_e32 v4, vcc_lo, v7, v9, vcc_lo
	s_delay_alu instid0(VALU_DEP_3) | instskip(NEXT) | instid1(VALU_DEP_1)
	v_add_co_ci_u32_e32 v11, vcc_lo, 0, v11, vcc_lo
	v_add_nc_u64_e32 v[4:5], v[4:5], v[10:11]
	s_delay_alu instid0(VALU_DEP_1) | instskip(NEXT) | instid1(VALU_DEP_1)
	v_mul_u64_e32 v[6:7], s[12:13], v[4:5]
	v_sub_nc_u32_e32 v8, v3, v7
	s_delay_alu instid0(VALU_DEP_2) | instskip(NEXT) | instid1(VALU_DEP_1)
	v_sub_co_u32 v2, vcc_lo, v2, v6
	v_sub_co_ci_u32_e64 v7, null, v3, v7, vcc_lo
	s_delay_alu instid0(VALU_DEP_3) | instskip(NEXT) | instid1(VALU_DEP_3)
	v_subrev_co_ci_u32_e64 v6, null, s13, v8, vcc_lo
	v_sub_co_u32 v10, s2, v2, s12
	v_cmp_le_u32_e32 vcc_lo, s12, v2
	s_delay_alu instid0(VALU_DEP_3) | instskip(NEXT) | instid1(VALU_DEP_3)
	v_subrev_co_ci_u32_e64 v6, null, 0, v6, s2
	v_cmp_le_u32_e64 s2, s12, v10
	v_add_nc_u64_e32 v[8:9], 2, v[4:5]
	v_cndmask_b32_e64 v12, 0, -1, vcc_lo
	s_delay_alu instid0(VALU_DEP_4) | instskip(SKIP_3) | instid1(VALU_DEP_1)
	v_cmp_eq_u32_e32 vcc_lo, s13, v6
	v_add_nc_u64_e32 v[2:3], 1, v[4:5]
	v_cndmask_b32_e64 v10, 0, -1, s2
	v_cmp_le_u32_e64 s2, s13, v6
	v_cndmask_b32_e64 v11, 0, -1, s2
	v_cmp_eq_u32_e64 s2, s13, v7
	s_delay_alu instid0(VALU_DEP_2) | instskip(SKIP_2) | instid1(VALU_DEP_3)
	v_cndmask_b32_e32 v6, v11, v10, vcc_lo
	v_cmp_le_u32_e32 vcc_lo, s13, v7
	v_cndmask_b32_e64 v10, 0, -1, vcc_lo
	v_cmp_ne_u32_e32 vcc_lo, 0, v6
	s_delay_alu instid0(VALU_DEP_2) | instskip(SKIP_1) | instid1(VALU_DEP_2)
	v_dual_cndmask_b32 v6, v10, v12, s2 :: v_dual_cndmask_b32 v3, v3, v9, vcc_lo
	v_cndmask_b32_e32 v2, v2, v8, vcc_lo
	v_cmp_ne_u32_e32 vcc_lo, 0, v6
	s_delay_alu instid0(VALU_DEP_2) | instskip(SKIP_1) | instid1(VALU_DEP_2)
	v_dual_cndmask_b32 v5, v5, v3 :: v_dual_cndmask_b32 v4, v4, v2
	v_dual_mov_b32 v3, s6 :: v_dual_mov_b32 v2, s6
	v_xor_b32_e32 v5, s6, v5
	s_delay_alu instid0(VALU_DEP_3) | instskip(NEXT) | instid1(VALU_DEP_1)
	v_xor_b32_e32 v4, s6, v4
	v_sub_nc_u64_e32 v[2:3], v[4:5], v[2:3]
	s_load_b64 s[0:1], s[0:1], 0x28
	s_cbranch_execnz .LBB69_9
.LBB69_8:
	v_cvt_f32_u32_e32 v2, s4
	s_sub_co_i32 s2, 0, s4
	s_delay_alu instid0(VALU_DEP_1) | instskip(SKIP_1) | instid1(TRANS32_DEP_1)
	v_rcp_iflag_f32_e32 v2, v2
	v_nop
	v_mul_f32_e32 v2, 0x4f7ffffe, v2
	s_delay_alu instid0(VALU_DEP_1) | instskip(NEXT) | instid1(VALU_DEP_1)
	v_cvt_u32_f32_e32 v2, v2
	v_mul_lo_u32 v3, s2, v2
	s_delay_alu instid0(VALU_DEP_1) | instskip(NEXT) | instid1(VALU_DEP_1)
	v_mul_hi_u32 v3, v2, v3
	v_add_nc_u32_e32 v2, v2, v3
	s_delay_alu instid0(VALU_DEP_1) | instskip(NEXT) | instid1(VALU_DEP_1)
	v_mul_hi_u32 v2, v0, v2
	v_mul_lo_u32 v3, v2, s4
	s_delay_alu instid0(VALU_DEP_1) | instskip(NEXT) | instid1(VALU_DEP_1)
	v_dual_add_nc_u32 v4, 1, v2 :: v_dual_sub_nc_u32 v3, v0, v3
	v_subrev_nc_u32_e32 v5, s4, v3
	v_cmp_le_u32_e32 vcc_lo, s4, v3
	s_delay_alu instid0(VALU_DEP_2) | instskip(NEXT) | instid1(VALU_DEP_1)
	v_dual_cndmask_b32 v3, v3, v5 :: v_dual_cndmask_b32 v2, v2, v4
	v_cmp_le_u32_e32 vcc_lo, s4, v3
	s_delay_alu instid0(VALU_DEP_2) | instskip(NEXT) | instid1(VALU_DEP_1)
	v_dual_mov_b32 v3, 0 :: v_dual_add_nc_u32 v4, 1, v2
	v_cndmask_b32_e32 v2, v2, v4, vcc_lo
.LBB69_9:
	s_delay_alu instid0(VALU_DEP_1) | instskip(SKIP_2) | instid1(SALU_CYCLE_1)
	v_mul_u64_e32 v[4:5], s[4:5], v[2:3]
	v_mul_u64_e32 v[2:3], s[8:9], v[2:3]
	s_bfe_u32 s2, ttmp6, 0x40010
	s_add_co_i32 s2, s2, 1
	s_delay_alu instid0(SALU_CYCLE_1) | instskip(NEXT) | instid1(VALU_DEP_2)
	s_mul_i32 s2, ttmp7, s2
	v_sub_nc_u64_e32 v[0:1], v[0:1], v[4:5]
	s_wait_kmcnt 0x0
	s_delay_alu instid0(VALU_DEP_1) | instskip(SKIP_4) | instid1(VALU_DEP_3)
	v_lshl_add_u64 v[0:1], v[0:1], 2, s[0:1]
	s_bfe_u32 s0, ttmp6, 0x40004
	s_mov_b32 s1, 0
	s_add_co_i32 s0, s0, s2
	s_cmp_eq_u32 s15, 0
	v_lshl_add_u64 v[0:1], v[2:3], 2, v[0:1]
	s_cselect_b32 s0, ttmp7, s0
	s_cmp_eq_u32 s14, 0
	s_mul_u64 s[0:1], s[10:11], s[0:1]
	s_delay_alu instid0(VALU_DEP_1) | instid1(SALU_CYCLE_1)
	v_lshl_add_u64 v[0:1], s[0:1], 2, v[0:1]
	s_cbranch_scc1 .LBB69_12
; %bb.10:
	global_load_b32 v2, v[0:1], off
	s_wait_loadcnt 0x0
	v_mul_lo_u32 v2, v2, s14
	s_branch .LBB69_13
.LBB69_11:
                                        ; implicit-def: $vgpr2_vgpr3
	s_load_b64 s[0:1], s[0:1], 0x28
	s_branch .LBB69_8
.LBB69_12:
	v_mov_b32_e32 v2, 0
.LBB69_13:
	global_store_b32 v[0:1], v2, off
.LBB69_14:
	s_endpgm
	.section	.rodata,"a",@progbits
	.p2align	6, 0x0
	.amdhsa_kernel _ZN9rocsparseL15scale_2d_kernelILj256EliEEvT0_S1_llNS_24const_host_device_scalarIT1_EEPS3_16rocsparse_order_b
		.amdhsa_group_segment_fixed_size 0
		.amdhsa_private_segment_fixed_size 0
		.amdhsa_kernarg_size 56
		.amdhsa_user_sgpr_count 2
		.amdhsa_user_sgpr_dispatch_ptr 0
		.amdhsa_user_sgpr_queue_ptr 0
		.amdhsa_user_sgpr_kernarg_segment_ptr 1
		.amdhsa_user_sgpr_dispatch_id 0
		.amdhsa_user_sgpr_kernarg_preload_length 0
		.amdhsa_user_sgpr_kernarg_preload_offset 0
		.amdhsa_user_sgpr_private_segment_size 0
		.amdhsa_wavefront_size32 1
		.amdhsa_uses_dynamic_stack 0
		.amdhsa_enable_private_segment 0
		.amdhsa_system_sgpr_workgroup_id_x 1
		.amdhsa_system_sgpr_workgroup_id_y 1
		.amdhsa_system_sgpr_workgroup_id_z 0
		.amdhsa_system_sgpr_workgroup_info 0
		.amdhsa_system_vgpr_workitem_id 0
		.amdhsa_next_free_vgpr 13
		.amdhsa_next_free_sgpr 26
		.amdhsa_named_barrier_count 0
		.amdhsa_reserve_vcc 1
		.amdhsa_float_round_mode_32 0
		.amdhsa_float_round_mode_16_64 0
		.amdhsa_float_denorm_mode_32 3
		.amdhsa_float_denorm_mode_16_64 3
		.amdhsa_fp16_overflow 0
		.amdhsa_memory_ordered 1
		.amdhsa_forward_progress 1
		.amdhsa_inst_pref_size 9
		.amdhsa_round_robin_scheduling 0
		.amdhsa_exception_fp_ieee_invalid_op 0
		.amdhsa_exception_fp_denorm_src 0
		.amdhsa_exception_fp_ieee_div_zero 0
		.amdhsa_exception_fp_ieee_overflow 0
		.amdhsa_exception_fp_ieee_underflow 0
		.amdhsa_exception_fp_ieee_inexact 0
		.amdhsa_exception_int_div_zero 0
	.end_amdhsa_kernel
	.section	.text._ZN9rocsparseL15scale_2d_kernelILj256EliEEvT0_S1_llNS_24const_host_device_scalarIT1_EEPS3_16rocsparse_order_b,"axG",@progbits,_ZN9rocsparseL15scale_2d_kernelILj256EliEEvT0_S1_llNS_24const_host_device_scalarIT1_EEPS3_16rocsparse_order_b,comdat
.Lfunc_end69:
	.size	_ZN9rocsparseL15scale_2d_kernelILj256EliEEvT0_S1_llNS_24const_host_device_scalarIT1_EEPS3_16rocsparse_order_b, .Lfunc_end69-_ZN9rocsparseL15scale_2d_kernelILj256EliEEvT0_S1_llNS_24const_host_device_scalarIT1_EEPS3_16rocsparse_order_b
                                        ; -- End function
	.set _ZN9rocsparseL15scale_2d_kernelILj256EliEEvT0_S1_llNS_24const_host_device_scalarIT1_EEPS3_16rocsparse_order_b.num_vgpr, 13
	.set _ZN9rocsparseL15scale_2d_kernelILj256EliEEvT0_S1_llNS_24const_host_device_scalarIT1_EEPS3_16rocsparse_order_b.num_agpr, 0
	.set _ZN9rocsparseL15scale_2d_kernelILj256EliEEvT0_S1_llNS_24const_host_device_scalarIT1_EEPS3_16rocsparse_order_b.numbered_sgpr, 26
	.set _ZN9rocsparseL15scale_2d_kernelILj256EliEEvT0_S1_llNS_24const_host_device_scalarIT1_EEPS3_16rocsparse_order_b.num_named_barrier, 0
	.set _ZN9rocsparseL15scale_2d_kernelILj256EliEEvT0_S1_llNS_24const_host_device_scalarIT1_EEPS3_16rocsparse_order_b.private_seg_size, 0
	.set _ZN9rocsparseL15scale_2d_kernelILj256EliEEvT0_S1_llNS_24const_host_device_scalarIT1_EEPS3_16rocsparse_order_b.uses_vcc, 1
	.set _ZN9rocsparseL15scale_2d_kernelILj256EliEEvT0_S1_llNS_24const_host_device_scalarIT1_EEPS3_16rocsparse_order_b.uses_flat_scratch, 0
	.set _ZN9rocsparseL15scale_2d_kernelILj256EliEEvT0_S1_llNS_24const_host_device_scalarIT1_EEPS3_16rocsparse_order_b.has_dyn_sized_stack, 0
	.set _ZN9rocsparseL15scale_2d_kernelILj256EliEEvT0_S1_llNS_24const_host_device_scalarIT1_EEPS3_16rocsparse_order_b.has_recursion, 0
	.set _ZN9rocsparseL15scale_2d_kernelILj256EliEEvT0_S1_llNS_24const_host_device_scalarIT1_EEPS3_16rocsparse_order_b.has_indirect_call, 0
	.section	.AMDGPU.csdata,"",@progbits
; Kernel info:
; codeLenInByte = 1084
; TotalNumSgprs: 28
; NumVgprs: 13
; ScratchSize: 0
; MemoryBound: 0
; FloatMode: 240
; IeeeMode: 1
; LDSByteSize: 0 bytes/workgroup (compile time only)
; SGPRBlocks: 0
; VGPRBlocks: 0
; NumSGPRsForWavesPerEU: 28
; NumVGPRsForWavesPerEU: 13
; NamedBarCnt: 0
; Occupancy: 16
; WaveLimiterHint : 0
; COMPUTE_PGM_RSRC2:SCRATCH_EN: 0
; COMPUTE_PGM_RSRC2:USER_SGPR: 2
; COMPUTE_PGM_RSRC2:TRAP_HANDLER: 0
; COMPUTE_PGM_RSRC2:TGID_X_EN: 1
; COMPUTE_PGM_RSRC2:TGID_Y_EN: 1
; COMPUTE_PGM_RSRC2:TGID_Z_EN: 0
; COMPUTE_PGM_RSRC2:TIDIG_COMP_CNT: 0
	.section	.text._ZN9rocsparseL15scale_2d_kernelILj256ElfEEvT0_S1_llNS_24const_host_device_scalarIT1_EEPS3_16rocsparse_order_b,"axG",@progbits,_ZN9rocsparseL15scale_2d_kernelILj256ElfEEvT0_S1_llNS_24const_host_device_scalarIT1_EEPS3_16rocsparse_order_b,comdat
	.globl	_ZN9rocsparseL15scale_2d_kernelILj256ElfEEvT0_S1_llNS_24const_host_device_scalarIT1_EEPS3_16rocsparse_order_b ; -- Begin function _ZN9rocsparseL15scale_2d_kernelILj256ElfEEvT0_S1_llNS_24const_host_device_scalarIT1_EEPS3_16rocsparse_order_b
	.p2align	8
	.type	_ZN9rocsparseL15scale_2d_kernelILj256ElfEEvT0_S1_llNS_24const_host_device_scalarIT1_EEPS3_16rocsparse_order_b,@function
_ZN9rocsparseL15scale_2d_kernelILj256ElfEEvT0_S1_llNS_24const_host_device_scalarIT1_EEPS3_16rocsparse_order_b: ; @_ZN9rocsparseL15scale_2d_kernelILj256ElfEEvT0_S1_llNS_24const_host_device_scalarIT1_EEPS3_16rocsparse_order_b
; %bb.0:
	s_clause 0x1
	s_load_b64 s[2:3], s[0:1], 0x30
	s_load_b64 s[12:13], s[0:1], 0x20
	s_wait_kmcnt 0x0
	s_bitcmp1_b32 s3, 0
	s_cselect_b32 s3, -1, 0
	s_delay_alu instid0(SALU_CYCLE_1)
	s_and_b32 vcc_lo, exec_lo, s3
	s_cbranch_vccnz .LBB70_2
; %bb.1:
	s_load_b32 s12, s[12:13], 0x0
.LBB70_2:
	s_wait_kmcnt 0x0
	s_cmp_eq_f32 s12, 1.0
	s_cbranch_scc1 .LBB70_12
; %bb.3:
	s_load_b256 s[4:11], s[0:1], 0x0
	s_bfe_u32 s3, ttmp6, 0x4000c
	s_and_b32 s14, ttmp6, 15
	s_add_co_i32 s3, s3, 1
	s_getreg_b32 s13, hwreg(HW_REG_IB_STS2, 6, 4)
	s_mul_i32 s3, ttmp9, s3
	v_mov_b32_e32 v1, 0
	s_add_co_i32 s14, s14, s3
	s_cmp_eq_u32 s13, 0
	s_cselect_b32 s3, ttmp9, s14
	s_delay_alu instid0(SALU_CYCLE_1)
	v_lshl_or_b32 v0, s3, 8, v0
	s_mov_b32 s3, exec_lo
	s_wait_kmcnt 0x0
	s_mul_u64 s[14:15], s[6:7], s[4:5]
	s_delay_alu instid0(VALU_DEP_1) | instid1(SALU_CYCLE_1)
	v_cmpx_gt_i64_e64 s[14:15], v[0:1]
	s_cbranch_execz .LBB70_12
; %bb.4:
	s_cmp_eq_u32 s2, 1
	s_cselect_b32 s5, s5, s7
	s_cselect_b32 s4, s4, s6
	s_delay_alu instid0(SALU_CYCLE_1) | instskip(NEXT) | instid1(SALU_CYCLE_1)
	s_and_b64 s[2:3], s[4:5], 0xffffffff00000000
	s_cmp_lg_u64 s[2:3], 0
	s_cbranch_scc0 .LBB70_9
; %bb.5:
	s_ashr_i32 s6, s5, 31
	v_add_nc_u64_e32 v[2:3], 0, v[0:1]
	s_mov_b32 s7, s6
	v_mov_b32_e32 v5, 0
	s_add_nc_u64 s[2:3], s[4:5], s[6:7]
	s_delay_alu instid0(SALU_CYCLE_1) | instskip(NEXT) | instid1(VALU_DEP_2)
	s_xor_b64 s[14:15], s[2:3], s[6:7]
	v_mov_b32_e32 v4, v2
	s_cvt_f32_u32 s2, s14
	s_cvt_f32_u32 s3, s15
	s_sub_nc_u64 s[18:19], 0, s[14:15]
	s_delay_alu instid0(SALU_CYCLE_2) | instskip(NEXT) | instid1(SALU_CYCLE_3)
	s_fmamk_f32 s2, s3, 0x4f800000, s2
	v_s_rcp_f32 s2, s2
	s_delay_alu instid0(TRANS32_DEP_1) | instskip(NEXT) | instid1(SALU_CYCLE_3)
	s_mul_f32 s2, s2, 0x5f7ffffc
	s_mul_f32 s3, s2, 0x2f800000
	s_delay_alu instid0(SALU_CYCLE_3) | instskip(NEXT) | instid1(SALU_CYCLE_3)
	s_trunc_f32 s3, s3
	s_fmamk_f32 s2, s3, 0xcf800000, s2
	s_cvt_u32_f32 s17, s3
	s_mov_b32 s3, 0
	s_delay_alu instid0(SALU_CYCLE_1) | instskip(NEXT) | instid1(SALU_CYCLE_3)
	s_cvt_u32_f32 s16, s2
	s_mul_u64 s[20:21], s[18:19], s[16:17]
	s_delay_alu instid0(SALU_CYCLE_1)
	s_mul_hi_u32 s23, s16, s21
	s_mul_i32 s22, s16, s21
	s_mul_hi_u32 s2, s16, s20
	s_mul_i32 s24, s17, s20
	s_add_nc_u64 s[22:23], s[2:3], s[22:23]
	s_mul_hi_u32 s7, s17, s20
	s_mul_hi_u32 s25, s17, s21
	s_add_co_u32 s2, s22, s24
	s_add_co_ci_u32 s2, s23, s7
	s_mul_i32 s20, s17, s21
	s_add_co_ci_u32 s21, s25, 0
	s_delay_alu instid0(SALU_CYCLE_1) | instskip(NEXT) | instid1(SALU_CYCLE_1)
	s_add_nc_u64 s[20:21], s[2:3], s[20:21]
	s_add_co_u32 s16, s16, s20
	s_cselect_b32 s2, -1, 0
	s_delay_alu instid0(SALU_CYCLE_1) | instskip(SKIP_1) | instid1(SALU_CYCLE_1)
	s_cmp_lg_u32 s2, 0
	s_add_co_ci_u32 s17, s17, s21
	s_mul_u64 s[18:19], s[18:19], s[16:17]
	s_delay_alu instid0(SALU_CYCLE_1)
	s_mul_hi_u32 s21, s16, s19
	s_mul_i32 s20, s16, s19
	s_mul_hi_u32 s2, s16, s18
	s_mul_i32 s22, s17, s18
	s_add_nc_u64 s[20:21], s[2:3], s[20:21]
	s_mul_hi_u32 s7, s17, s18
	s_mul_hi_u32 s23, s17, s19
	s_add_co_u32 s2, s20, s22
	s_add_co_ci_u32 s2, s21, s7
	s_mul_i32 s18, s17, s19
	s_add_co_ci_u32 s19, s23, 0
	s_delay_alu instid0(SALU_CYCLE_1) | instskip(NEXT) | instid1(SALU_CYCLE_1)
	s_add_nc_u64 s[18:19], s[2:3], s[18:19]
	s_add_co_u32 s16, s16, s18
	s_cselect_b32 s2, -1, 0
	s_delay_alu instid0(SALU_CYCLE_1)
	s_cmp_lg_u32 s2, 0
	s_add_co_ci_u32 s2, s17, s19
	s_mov_b64 s[18:19], 0xffffffff
	v_nop
	v_mul_u64_e32 v[6:7], s[2:3], v[4:5]
	v_mul_hi_u32 v4, v2, s16
	s_and_b64 s[16:17], s[16:17], s[18:19]
	s_delay_alu instid0(VALU_DEP_1) | instskip(SKIP_1) | instid1(VALU_DEP_1)
	v_add_nc_u64_e32 v[6:7], v[4:5], v[6:7]
	v_mov_b32_e32 v4, v3
	v_mul_u64_e32 v[8:9], s[16:17], v[4:5]
	v_mul_u64_e32 v[10:11], s[2:3], v[4:5]
	s_delay_alu instid0(VALU_DEP_2) | instskip(NEXT) | instid1(VALU_DEP_3)
	v_add_co_u32 v4, vcc_lo, v6, v8
	v_add_co_ci_u32_e32 v4, vcc_lo, v7, v9, vcc_lo
	s_delay_alu instid0(VALU_DEP_3) | instskip(NEXT) | instid1(VALU_DEP_1)
	v_add_co_ci_u32_e32 v11, vcc_lo, 0, v11, vcc_lo
	v_add_nc_u64_e32 v[4:5], v[4:5], v[10:11]
	s_delay_alu instid0(VALU_DEP_1) | instskip(NEXT) | instid1(VALU_DEP_1)
	v_mul_u64_e32 v[6:7], s[14:15], v[4:5]
	v_sub_nc_u32_e32 v8, v3, v7
	s_delay_alu instid0(VALU_DEP_2) | instskip(NEXT) | instid1(VALU_DEP_1)
	v_sub_co_u32 v2, vcc_lo, v2, v6
	v_sub_co_ci_u32_e64 v7, null, v3, v7, vcc_lo
	s_delay_alu instid0(VALU_DEP_3) | instskip(NEXT) | instid1(VALU_DEP_3)
	v_subrev_co_ci_u32_e64 v6, null, s15, v8, vcc_lo
	v_sub_co_u32 v10, s2, v2, s14
	v_cmp_le_u32_e32 vcc_lo, s14, v2
	s_delay_alu instid0(VALU_DEP_3) | instskip(NEXT) | instid1(VALU_DEP_3)
	v_subrev_co_ci_u32_e64 v6, null, 0, v6, s2
	v_cmp_le_u32_e64 s2, s14, v10
	v_add_nc_u64_e32 v[8:9], 2, v[4:5]
	v_cndmask_b32_e64 v12, 0, -1, vcc_lo
	s_delay_alu instid0(VALU_DEP_4) | instskip(SKIP_3) | instid1(VALU_DEP_1)
	v_cmp_eq_u32_e32 vcc_lo, s15, v6
	v_add_nc_u64_e32 v[2:3], 1, v[4:5]
	v_cndmask_b32_e64 v10, 0, -1, s2
	v_cmp_le_u32_e64 s2, s15, v6
	v_cndmask_b32_e64 v11, 0, -1, s2
	v_cmp_eq_u32_e64 s2, s15, v7
	s_delay_alu instid0(VALU_DEP_2) | instskip(SKIP_2) | instid1(VALU_DEP_3)
	v_cndmask_b32_e32 v6, v11, v10, vcc_lo
	v_cmp_le_u32_e32 vcc_lo, s15, v7
	v_cndmask_b32_e64 v10, 0, -1, vcc_lo
	v_cmp_ne_u32_e32 vcc_lo, 0, v6
	s_delay_alu instid0(VALU_DEP_2) | instskip(SKIP_1) | instid1(VALU_DEP_2)
	v_dual_cndmask_b32 v6, v10, v12, s2 :: v_dual_cndmask_b32 v3, v3, v9, vcc_lo
	v_cndmask_b32_e32 v2, v2, v8, vcc_lo
	v_cmp_ne_u32_e32 vcc_lo, 0, v6
	s_delay_alu instid0(VALU_DEP_2) | instskip(SKIP_1) | instid1(VALU_DEP_2)
	v_dual_cndmask_b32 v5, v5, v3 :: v_dual_cndmask_b32 v4, v4, v2
	v_dual_mov_b32 v3, s6 :: v_dual_mov_b32 v2, s6
	v_xor_b32_e32 v5, s6, v5
	s_delay_alu instid0(VALU_DEP_3) | instskip(NEXT) | instid1(VALU_DEP_1)
	v_xor_b32_e32 v4, s6, v4
	v_sub_nc_u64_e32 v[2:3], v[4:5], v[2:3]
	s_load_b64 s[0:1], s[0:1], 0x28
	s_cbranch_execnz .LBB70_7
.LBB70_6:
	v_cvt_f32_u32_e32 v2, s4
	s_sub_co_i32 s2, 0, s4
	s_delay_alu instid0(VALU_DEP_1) | instskip(SKIP_1) | instid1(TRANS32_DEP_1)
	v_rcp_iflag_f32_e32 v2, v2
	v_nop
	v_mul_f32_e32 v2, 0x4f7ffffe, v2
	s_delay_alu instid0(VALU_DEP_1) | instskip(NEXT) | instid1(VALU_DEP_1)
	v_cvt_u32_f32_e32 v2, v2
	v_mul_lo_u32 v3, s2, v2
	s_delay_alu instid0(VALU_DEP_1) | instskip(NEXT) | instid1(VALU_DEP_1)
	v_mul_hi_u32 v3, v2, v3
	v_add_nc_u32_e32 v2, v2, v3
	s_delay_alu instid0(VALU_DEP_1) | instskip(NEXT) | instid1(VALU_DEP_1)
	v_mul_hi_u32 v2, v0, v2
	v_mul_lo_u32 v3, v2, s4
	s_delay_alu instid0(VALU_DEP_1) | instskip(NEXT) | instid1(VALU_DEP_1)
	v_dual_add_nc_u32 v4, 1, v2 :: v_dual_sub_nc_u32 v3, v0, v3
	v_subrev_nc_u32_e32 v5, s4, v3
	v_cmp_le_u32_e32 vcc_lo, s4, v3
	s_delay_alu instid0(VALU_DEP_2) | instskip(NEXT) | instid1(VALU_DEP_1)
	v_dual_cndmask_b32 v3, v3, v5 :: v_dual_cndmask_b32 v2, v2, v4
	v_cmp_le_u32_e32 vcc_lo, s4, v3
	s_delay_alu instid0(VALU_DEP_2) | instskip(NEXT) | instid1(VALU_DEP_1)
	v_dual_mov_b32 v3, 0 :: v_dual_add_nc_u32 v4, 1, v2
	v_cndmask_b32_e32 v2, v2, v4, vcc_lo
.LBB70_7:
	s_delay_alu instid0(VALU_DEP_1) | instskip(SKIP_2) | instid1(SALU_CYCLE_1)
	v_mul_u64_e32 v[4:5], s[4:5], v[2:3]
	v_mul_u64_e32 v[2:3], s[8:9], v[2:3]
	s_bfe_u32 s2, ttmp6, 0x40010
	s_add_co_i32 s2, s2, 1
	s_delay_alu instid0(SALU_CYCLE_1) | instskip(NEXT) | instid1(VALU_DEP_2)
	s_mul_i32 s2, ttmp7, s2
	v_sub_nc_u64_e32 v[0:1], v[0:1], v[4:5]
	s_wait_kmcnt 0x0
	s_delay_alu instid0(VALU_DEP_1) | instskip(SKIP_4) | instid1(VALU_DEP_3)
	v_lshl_add_u64 v[0:1], v[0:1], 2, s[0:1]
	s_bfe_u32 s0, ttmp6, 0x40004
	s_mov_b32 s1, 0
	s_add_co_i32 s0, s0, s2
	s_cmp_eq_u32 s13, 0
	v_lshl_add_u64 v[0:1], v[2:3], 2, v[0:1]
	s_cselect_b32 s0, ttmp7, s0
	s_cmp_eq_f32 s12, 0
	s_mul_u64 s[0:1], s[10:11], s[0:1]
	s_delay_alu instid0(VALU_DEP_1) | instid1(SALU_CYCLE_1)
	v_lshl_add_u64 v[0:1], s[0:1], 2, v[0:1]
	s_cbranch_scc1 .LBB70_10
; %bb.8:
	global_load_b32 v2, v[0:1], off
	s_wait_loadcnt 0x0
	v_mul_f32_e32 v2, s12, v2
	s_branch .LBB70_11
.LBB70_9:
                                        ; implicit-def: $vgpr2_vgpr3
	s_load_b64 s[0:1], s[0:1], 0x28
	s_branch .LBB70_6
.LBB70_10:
	v_mov_b32_e32 v2, 0
.LBB70_11:
	global_store_b32 v[0:1], v2, off
.LBB70_12:
	s_endpgm
	.section	.rodata,"a",@progbits
	.p2align	6, 0x0
	.amdhsa_kernel _ZN9rocsparseL15scale_2d_kernelILj256ElfEEvT0_S1_llNS_24const_host_device_scalarIT1_EEPS3_16rocsparse_order_b
		.amdhsa_group_segment_fixed_size 0
		.amdhsa_private_segment_fixed_size 0
		.amdhsa_kernarg_size 56
		.amdhsa_user_sgpr_count 2
		.amdhsa_user_sgpr_dispatch_ptr 0
		.amdhsa_user_sgpr_queue_ptr 0
		.amdhsa_user_sgpr_kernarg_segment_ptr 1
		.amdhsa_user_sgpr_dispatch_id 0
		.amdhsa_user_sgpr_kernarg_preload_length 0
		.amdhsa_user_sgpr_kernarg_preload_offset 0
		.amdhsa_user_sgpr_private_segment_size 0
		.amdhsa_wavefront_size32 1
		.amdhsa_uses_dynamic_stack 0
		.amdhsa_enable_private_segment 0
		.amdhsa_system_sgpr_workgroup_id_x 1
		.amdhsa_system_sgpr_workgroup_id_y 1
		.amdhsa_system_sgpr_workgroup_id_z 0
		.amdhsa_system_sgpr_workgroup_info 0
		.amdhsa_system_vgpr_workitem_id 0
		.amdhsa_next_free_vgpr 13
		.amdhsa_next_free_sgpr 26
		.amdhsa_named_barrier_count 0
		.amdhsa_reserve_vcc 1
		.amdhsa_float_round_mode_32 0
		.amdhsa_float_round_mode_16_64 0
		.amdhsa_float_denorm_mode_32 3
		.amdhsa_float_denorm_mode_16_64 3
		.amdhsa_fp16_overflow 0
		.amdhsa_memory_ordered 1
		.amdhsa_forward_progress 1
		.amdhsa_inst_pref_size 9
		.amdhsa_round_robin_scheduling 0
		.amdhsa_exception_fp_ieee_invalid_op 0
		.amdhsa_exception_fp_denorm_src 0
		.amdhsa_exception_fp_ieee_div_zero 0
		.amdhsa_exception_fp_ieee_overflow 0
		.amdhsa_exception_fp_ieee_underflow 0
		.amdhsa_exception_fp_ieee_inexact 0
		.amdhsa_exception_int_div_zero 0
	.end_amdhsa_kernel
	.section	.text._ZN9rocsparseL15scale_2d_kernelILj256ElfEEvT0_S1_llNS_24const_host_device_scalarIT1_EEPS3_16rocsparse_order_b,"axG",@progbits,_ZN9rocsparseL15scale_2d_kernelILj256ElfEEvT0_S1_llNS_24const_host_device_scalarIT1_EEPS3_16rocsparse_order_b,comdat
.Lfunc_end70:
	.size	_ZN9rocsparseL15scale_2d_kernelILj256ElfEEvT0_S1_llNS_24const_host_device_scalarIT1_EEPS3_16rocsparse_order_b, .Lfunc_end70-_ZN9rocsparseL15scale_2d_kernelILj256ElfEEvT0_S1_llNS_24const_host_device_scalarIT1_EEPS3_16rocsparse_order_b
                                        ; -- End function
	.set _ZN9rocsparseL15scale_2d_kernelILj256ElfEEvT0_S1_llNS_24const_host_device_scalarIT1_EEPS3_16rocsparse_order_b.num_vgpr, 13
	.set _ZN9rocsparseL15scale_2d_kernelILj256ElfEEvT0_S1_llNS_24const_host_device_scalarIT1_EEPS3_16rocsparse_order_b.num_agpr, 0
	.set _ZN9rocsparseL15scale_2d_kernelILj256ElfEEvT0_S1_llNS_24const_host_device_scalarIT1_EEPS3_16rocsparse_order_b.numbered_sgpr, 26
	.set _ZN9rocsparseL15scale_2d_kernelILj256ElfEEvT0_S1_llNS_24const_host_device_scalarIT1_EEPS3_16rocsparse_order_b.num_named_barrier, 0
	.set _ZN9rocsparseL15scale_2d_kernelILj256ElfEEvT0_S1_llNS_24const_host_device_scalarIT1_EEPS3_16rocsparse_order_b.private_seg_size, 0
	.set _ZN9rocsparseL15scale_2d_kernelILj256ElfEEvT0_S1_llNS_24const_host_device_scalarIT1_EEPS3_16rocsparse_order_b.uses_vcc, 1
	.set _ZN9rocsparseL15scale_2d_kernelILj256ElfEEvT0_S1_llNS_24const_host_device_scalarIT1_EEPS3_16rocsparse_order_b.uses_flat_scratch, 0
	.set _ZN9rocsparseL15scale_2d_kernelILj256ElfEEvT0_S1_llNS_24const_host_device_scalarIT1_EEPS3_16rocsparse_order_b.has_dyn_sized_stack, 0
	.set _ZN9rocsparseL15scale_2d_kernelILj256ElfEEvT0_S1_llNS_24const_host_device_scalarIT1_EEPS3_16rocsparse_order_b.has_recursion, 0
	.set _ZN9rocsparseL15scale_2d_kernelILj256ElfEEvT0_S1_llNS_24const_host_device_scalarIT1_EEPS3_16rocsparse_order_b.has_indirect_call, 0
	.section	.AMDGPU.csdata,"",@progbits
; Kernel info:
; codeLenInByte = 1068
; TotalNumSgprs: 28
; NumVgprs: 13
; ScratchSize: 0
; MemoryBound: 0
; FloatMode: 240
; IeeeMode: 1
; LDSByteSize: 0 bytes/workgroup (compile time only)
; SGPRBlocks: 0
; VGPRBlocks: 0
; NumSGPRsForWavesPerEU: 28
; NumVGPRsForWavesPerEU: 13
; NamedBarCnt: 0
; Occupancy: 16
; WaveLimiterHint : 0
; COMPUTE_PGM_RSRC2:SCRATCH_EN: 0
; COMPUTE_PGM_RSRC2:USER_SGPR: 2
; COMPUTE_PGM_RSRC2:TRAP_HANDLER: 0
; COMPUTE_PGM_RSRC2:TGID_X_EN: 1
; COMPUTE_PGM_RSRC2:TGID_Y_EN: 1
; COMPUTE_PGM_RSRC2:TGID_Z_EN: 0
; COMPUTE_PGM_RSRC2:TIDIG_COMP_CNT: 0
	.section	.text._ZN9rocsparseL15scale_2d_kernelILj256EldEEvT0_S1_llNS_24const_host_device_scalarIT1_EEPS3_16rocsparse_order_b,"axG",@progbits,_ZN9rocsparseL15scale_2d_kernelILj256EldEEvT0_S1_llNS_24const_host_device_scalarIT1_EEPS3_16rocsparse_order_b,comdat
	.globl	_ZN9rocsparseL15scale_2d_kernelILj256EldEEvT0_S1_llNS_24const_host_device_scalarIT1_EEPS3_16rocsparse_order_b ; -- Begin function _ZN9rocsparseL15scale_2d_kernelILj256EldEEvT0_S1_llNS_24const_host_device_scalarIT1_EEPS3_16rocsparse_order_b
	.p2align	8
	.type	_ZN9rocsparseL15scale_2d_kernelILj256EldEEvT0_S1_llNS_24const_host_device_scalarIT1_EEPS3_16rocsparse_order_b,@function
_ZN9rocsparseL15scale_2d_kernelILj256EldEEvT0_S1_llNS_24const_host_device_scalarIT1_EEPS3_16rocsparse_order_b: ; @_ZN9rocsparseL15scale_2d_kernelILj256EldEEvT0_S1_llNS_24const_host_device_scalarIT1_EEPS3_16rocsparse_order_b
; %bb.0:
	s_clause 0x1
	s_load_b64 s[2:3], s[0:1], 0x30
	s_load_b64 s[4:5], s[0:1], 0x20
	s_wait_kmcnt 0x0
	s_bitcmp1_b32 s3, 0
	v_mov_b64_e32 v[2:3], s[4:5]
	s_cselect_b32 s3, -1, 0
	s_delay_alu instid0(SALU_CYCLE_1)
	s_and_b32 vcc_lo, exec_lo, s3
	s_cbranch_vccnz .LBB71_2
; %bb.1:
	v_mov_b32_e32 v1, 0
	flat_load_b64 v[2:3], v1, s[4:5]
.LBB71_2:
	s_mov_b32 s3, exec_lo
	s_wait_loadcnt_dscnt 0x0
	s_delay_alu instid0(VALU_DEP_1)
	v_cmpx_neq_f64_e32 1.0, v[2:3]
	s_cbranch_execz .LBB71_10
; %bb.3:
	s_load_b256 s[4:11], s[0:1], 0x0
	s_bfe_u32 s3, ttmp6, 0x4000c
	s_and_b32 s12, ttmp6, 15
	s_add_co_i32 s3, s3, 1
	s_getreg_b32 s14, hwreg(HW_REG_IB_STS2, 6, 4)
	s_mul_i32 s3, ttmp9, s3
	v_mov_b32_e32 v1, 0
	s_add_co_i32 s12, s12, s3
	s_cmp_eq_u32 s14, 0
	s_cselect_b32 s3, ttmp9, s12
	s_delay_alu instid0(SALU_CYCLE_1)
	v_lshl_or_b32 v0, s3, 8, v0
	s_wait_kmcnt 0x0
	s_mul_u64 s[12:13], s[6:7], s[4:5]
	s_delay_alu instid0(VALU_DEP_1) | instid1(SALU_CYCLE_1)
	v_cmp_gt_i64_e32 vcc_lo, s[12:13], v[0:1]
	s_and_b32 exec_lo, exec_lo, vcc_lo
	s_cbranch_execz .LBB71_10
; %bb.4:
	s_cmp_eq_u32 s2, 1
	s_cselect_b32 s5, s5, s7
	s_cselect_b32 s4, s4, s6
	s_delay_alu instid0(SALU_CYCLE_1) | instskip(NEXT) | instid1(SALU_CYCLE_1)
	s_and_b64 s[2:3], s[4:5], 0xffffffff00000000
	s_cmp_lg_u64 s[2:3], 0
	s_cbranch_scc0 .LBB71_11
; %bb.5:
	s_ashr_i32 s6, s5, 31
	v_add_nc_u64_e32 v[4:5], 0, v[0:1]
	s_mov_b32 s7, s6
	v_mov_b32_e32 v7, 0
	s_add_nc_u64 s[2:3], s[4:5], s[6:7]
	s_delay_alu instid0(SALU_CYCLE_1) | instskip(NEXT) | instid1(VALU_DEP_2)
	s_xor_b64 s[12:13], s[2:3], s[6:7]
	v_mov_b32_e32 v6, v4
	s_cvt_f32_u32 s2, s12
	s_cvt_f32_u32 s3, s13
	s_sub_nc_u64 s[18:19], 0, s[12:13]
	s_delay_alu instid0(SALU_CYCLE_2) | instskip(NEXT) | instid1(SALU_CYCLE_3)
	s_fmamk_f32 s2, s3, 0x4f800000, s2
	v_s_rcp_f32 s2, s2
	s_delay_alu instid0(TRANS32_DEP_1) | instskip(NEXT) | instid1(SALU_CYCLE_3)
	s_mul_f32 s2, s2, 0x5f7ffffc
	s_mul_f32 s3, s2, 0x2f800000
	s_delay_alu instid0(SALU_CYCLE_3) | instskip(NEXT) | instid1(SALU_CYCLE_3)
	s_trunc_f32 s3, s3
	s_fmamk_f32 s2, s3, 0xcf800000, s2
	s_cvt_u32_f32 s17, s3
	s_mov_b32 s3, 0
	s_delay_alu instid0(SALU_CYCLE_1) | instskip(NEXT) | instid1(SALU_CYCLE_3)
	s_cvt_u32_f32 s16, s2
	s_mul_u64 s[20:21], s[18:19], s[16:17]
	s_delay_alu instid0(SALU_CYCLE_1)
	s_mul_hi_u32 s23, s16, s21
	s_mul_i32 s22, s16, s21
	s_mul_hi_u32 s2, s16, s20
	s_mul_i32 s15, s17, s20
	s_add_nc_u64 s[22:23], s[2:3], s[22:23]
	s_mul_hi_u32 s7, s17, s20
	s_mul_hi_u32 s24, s17, s21
	s_add_co_u32 s2, s22, s15
	s_add_co_ci_u32 s2, s23, s7
	s_mul_i32 s20, s17, s21
	s_add_co_ci_u32 s21, s24, 0
	s_delay_alu instid0(SALU_CYCLE_1) | instskip(NEXT) | instid1(SALU_CYCLE_1)
	s_add_nc_u64 s[20:21], s[2:3], s[20:21]
	s_add_co_u32 s16, s16, s20
	s_cselect_b32 s2, -1, 0
	s_delay_alu instid0(SALU_CYCLE_1) | instskip(SKIP_1) | instid1(SALU_CYCLE_1)
	s_cmp_lg_u32 s2, 0
	s_add_co_ci_u32 s17, s17, s21
	s_mul_u64 s[18:19], s[18:19], s[16:17]
	s_delay_alu instid0(SALU_CYCLE_1)
	s_mul_hi_u32 s21, s16, s19
	s_mul_i32 s20, s16, s19
	s_mul_hi_u32 s2, s16, s18
	s_mul_i32 s15, s17, s18
	s_add_nc_u64 s[20:21], s[2:3], s[20:21]
	s_mul_hi_u32 s7, s17, s18
	s_mul_hi_u32 s22, s17, s19
	s_add_co_u32 s2, s20, s15
	s_add_co_ci_u32 s2, s21, s7
	s_mul_i32 s18, s17, s19
	s_add_co_ci_u32 s19, s22, 0
	s_delay_alu instid0(SALU_CYCLE_1) | instskip(NEXT) | instid1(SALU_CYCLE_1)
	s_add_nc_u64 s[18:19], s[2:3], s[18:19]
	s_add_co_u32 s16, s16, s18
	s_cselect_b32 s2, -1, 0
	s_delay_alu instid0(SALU_CYCLE_1)
	s_cmp_lg_u32 s2, 0
	s_add_co_ci_u32 s2, s17, s19
	s_mov_b64 s[18:19], 0xffffffff
	v_nop
	v_mul_u64_e32 v[8:9], s[2:3], v[6:7]
	v_mul_hi_u32 v6, v4, s16
	s_and_b64 s[16:17], s[16:17], s[18:19]
	s_delay_alu instid0(VALU_DEP_1) | instskip(SKIP_1) | instid1(VALU_DEP_1)
	v_add_nc_u64_e32 v[8:9], v[6:7], v[8:9]
	v_mov_b32_e32 v6, v5
	v_mul_u64_e32 v[10:11], s[16:17], v[6:7]
	v_mul_u64_e32 v[12:13], s[2:3], v[6:7]
	s_delay_alu instid0(VALU_DEP_2) | instskip(NEXT) | instid1(VALU_DEP_3)
	v_add_co_u32 v6, vcc_lo, v8, v10
	v_add_co_ci_u32_e32 v6, vcc_lo, v9, v11, vcc_lo
	s_delay_alu instid0(VALU_DEP_3) | instskip(NEXT) | instid1(VALU_DEP_1)
	v_add_co_ci_u32_e32 v13, vcc_lo, 0, v13, vcc_lo
	v_add_nc_u64_e32 v[6:7], v[6:7], v[12:13]
	s_delay_alu instid0(VALU_DEP_1) | instskip(NEXT) | instid1(VALU_DEP_1)
	v_mul_u64_e32 v[8:9], s[12:13], v[6:7]
	v_sub_nc_u32_e32 v10, v5, v9
	s_delay_alu instid0(VALU_DEP_2) | instskip(NEXT) | instid1(VALU_DEP_1)
	v_sub_co_u32 v4, vcc_lo, v4, v8
	v_sub_co_ci_u32_e64 v9, null, v5, v9, vcc_lo
	s_delay_alu instid0(VALU_DEP_3) | instskip(NEXT) | instid1(VALU_DEP_3)
	v_subrev_co_ci_u32_e64 v8, null, s13, v10, vcc_lo
	v_sub_co_u32 v12, s2, v4, s12
	v_cmp_le_u32_e32 vcc_lo, s12, v4
	s_delay_alu instid0(VALU_DEP_3) | instskip(NEXT) | instid1(VALU_DEP_3)
	v_subrev_co_ci_u32_e64 v8, null, 0, v8, s2
	v_cmp_le_u32_e64 s2, s12, v12
	v_add_nc_u64_e32 v[10:11], 2, v[6:7]
	v_cndmask_b32_e64 v14, 0, -1, vcc_lo
	s_delay_alu instid0(VALU_DEP_4) | instskip(SKIP_3) | instid1(VALU_DEP_1)
	v_cmp_eq_u32_e32 vcc_lo, s13, v8
	v_add_nc_u64_e32 v[4:5], 1, v[6:7]
	v_cndmask_b32_e64 v12, 0, -1, s2
	v_cmp_le_u32_e64 s2, s13, v8
	v_cndmask_b32_e64 v13, 0, -1, s2
	v_cmp_eq_u32_e64 s2, s13, v9
	s_delay_alu instid0(VALU_DEP_2) | instskip(SKIP_2) | instid1(VALU_DEP_3)
	v_cndmask_b32_e32 v8, v13, v12, vcc_lo
	v_cmp_le_u32_e32 vcc_lo, s13, v9
	v_cndmask_b32_e64 v12, 0, -1, vcc_lo
	v_cmp_ne_u32_e32 vcc_lo, 0, v8
	s_delay_alu instid0(VALU_DEP_2) | instskip(SKIP_1) | instid1(VALU_DEP_2)
	v_dual_cndmask_b32 v8, v12, v14, s2 :: v_dual_cndmask_b32 v5, v5, v11, vcc_lo
	v_cndmask_b32_e32 v4, v4, v10, vcc_lo
	v_cmp_ne_u32_e32 vcc_lo, 0, v8
	s_delay_alu instid0(VALU_DEP_2) | instskip(SKIP_1) | instid1(VALU_DEP_2)
	v_dual_cndmask_b32 v7, v7, v5 :: v_dual_cndmask_b32 v6, v6, v4
	v_dual_mov_b32 v5, s6 :: v_dual_mov_b32 v4, s6
	v_xor_b32_e32 v7, s6, v7
	s_delay_alu instid0(VALU_DEP_3) | instskip(NEXT) | instid1(VALU_DEP_1)
	v_xor_b32_e32 v6, s6, v6
	v_sub_nc_u64_e32 v[4:5], v[6:7], v[4:5]
	s_load_b64 s[0:1], s[0:1], 0x28
	s_cbranch_execnz .LBB71_7
.LBB71_6:
	v_cvt_f32_u32_e32 v4, s4
	s_sub_co_i32 s2, 0, s4
	s_delay_alu instid0(VALU_DEP_1) | instskip(SKIP_1) | instid1(TRANS32_DEP_1)
	v_rcp_iflag_f32_e32 v4, v4
	v_nop
	v_mul_f32_e32 v4, 0x4f7ffffe, v4
	s_delay_alu instid0(VALU_DEP_1) | instskip(NEXT) | instid1(VALU_DEP_1)
	v_cvt_u32_f32_e32 v4, v4
	v_mul_lo_u32 v5, s2, v4
	s_delay_alu instid0(VALU_DEP_1) | instskip(NEXT) | instid1(VALU_DEP_1)
	v_mul_hi_u32 v5, v4, v5
	v_add_nc_u32_e32 v4, v4, v5
	s_delay_alu instid0(VALU_DEP_1) | instskip(NEXT) | instid1(VALU_DEP_1)
	v_mul_hi_u32 v4, v0, v4
	v_mul_lo_u32 v5, v4, s4
	s_delay_alu instid0(VALU_DEP_1) | instskip(NEXT) | instid1(VALU_DEP_1)
	v_dual_add_nc_u32 v6, 1, v4 :: v_dual_sub_nc_u32 v5, v0, v5
	v_subrev_nc_u32_e32 v7, s4, v5
	v_cmp_le_u32_e32 vcc_lo, s4, v5
	s_delay_alu instid0(VALU_DEP_2) | instskip(NEXT) | instid1(VALU_DEP_1)
	v_dual_cndmask_b32 v5, v5, v7 :: v_dual_cndmask_b32 v4, v4, v6
	v_cmp_le_u32_e32 vcc_lo, s4, v5
	s_delay_alu instid0(VALU_DEP_2) | instskip(NEXT) | instid1(VALU_DEP_1)
	v_dual_mov_b32 v5, 0 :: v_dual_add_nc_u32 v6, 1, v4
	v_cndmask_b32_e32 v4, v4, v6, vcc_lo
.LBB71_7:
	s_delay_alu instid0(VALU_DEP_1) | instskip(SKIP_2) | instid1(SALU_CYCLE_1)
	v_mul_u64_e32 v[6:7], s[4:5], v[4:5]
	v_mul_u64_e32 v[4:5], s[8:9], v[4:5]
	s_bfe_u32 s2, ttmp6, 0x40010
	s_add_co_i32 s2, s2, 1
	s_delay_alu instid0(SALU_CYCLE_1) | instskip(NEXT) | instid1(VALU_DEP_2)
	s_mul_i32 s2, ttmp7, s2
	v_sub_nc_u64_e32 v[0:1], v[0:1], v[6:7]
	s_wait_kmcnt 0x0
	s_delay_alu instid0(VALU_DEP_1) | instskip(SKIP_4) | instid1(VALU_DEP_3)
	v_lshl_add_u64 v[0:1], v[0:1], 3, s[0:1]
	s_bfe_u32 s0, ttmp6, 0x40004
	s_mov_b32 s1, 0
	s_add_co_i32 s0, s0, s2
	s_cmp_eq_u32 s14, 0
	v_lshl_add_u64 v[0:1], v[4:5], 3, v[0:1]
	s_cselect_b32 s0, ttmp7, s0
	v_mov_b64_e32 v[4:5], 0
	s_mul_u64 s[0:1], s[10:11], s[0:1]
	s_delay_alu instid0(VALU_DEP_2) | instid1(SALU_CYCLE_1)
	v_lshl_add_u64 v[0:1], s[0:1], 3, v[0:1]
	s_mov_b32 s0, exec_lo
	v_cmpx_neq_f64_e32 0, v[2:3]
	s_cbranch_execz .LBB71_9
; %bb.8:
	global_load_b64 v[4:5], v[0:1], off
	s_wait_loadcnt 0x0
	v_mul_f64_e32 v[4:5], v[2:3], v[4:5]
.LBB71_9:
	s_or_b32 exec_lo, exec_lo, s0
	global_store_b64 v[0:1], v[4:5], off
.LBB71_10:
	s_endpgm
.LBB71_11:
                                        ; implicit-def: $vgpr4_vgpr5
	s_load_b64 s[0:1], s[0:1], 0x28
	s_branch .LBB71_6
	.section	.rodata,"a",@progbits
	.p2align	6, 0x0
	.amdhsa_kernel _ZN9rocsparseL15scale_2d_kernelILj256EldEEvT0_S1_llNS_24const_host_device_scalarIT1_EEPS3_16rocsparse_order_b
		.amdhsa_group_segment_fixed_size 0
		.amdhsa_private_segment_fixed_size 0
		.amdhsa_kernarg_size 56
		.amdhsa_user_sgpr_count 2
		.amdhsa_user_sgpr_dispatch_ptr 0
		.amdhsa_user_sgpr_queue_ptr 0
		.amdhsa_user_sgpr_kernarg_segment_ptr 1
		.amdhsa_user_sgpr_dispatch_id 0
		.amdhsa_user_sgpr_kernarg_preload_length 0
		.amdhsa_user_sgpr_kernarg_preload_offset 0
		.amdhsa_user_sgpr_private_segment_size 0
		.amdhsa_wavefront_size32 1
		.amdhsa_uses_dynamic_stack 0
		.amdhsa_enable_private_segment 0
		.amdhsa_system_sgpr_workgroup_id_x 1
		.amdhsa_system_sgpr_workgroup_id_y 1
		.amdhsa_system_sgpr_workgroup_id_z 0
		.amdhsa_system_sgpr_workgroup_info 0
		.amdhsa_system_vgpr_workitem_id 0
		.amdhsa_next_free_vgpr 15
		.amdhsa_next_free_sgpr 25
		.amdhsa_named_barrier_count 0
		.amdhsa_reserve_vcc 1
		.amdhsa_float_round_mode_32 0
		.amdhsa_float_round_mode_16_64 0
		.amdhsa_float_denorm_mode_32 3
		.amdhsa_float_denorm_mode_16_64 3
		.amdhsa_fp16_overflow 0
		.amdhsa_memory_ordered 1
		.amdhsa_forward_progress 1
		.amdhsa_inst_pref_size 9
		.amdhsa_round_robin_scheduling 0
		.amdhsa_exception_fp_ieee_invalid_op 0
		.amdhsa_exception_fp_denorm_src 0
		.amdhsa_exception_fp_ieee_div_zero 0
		.amdhsa_exception_fp_ieee_overflow 0
		.amdhsa_exception_fp_ieee_underflow 0
		.amdhsa_exception_fp_ieee_inexact 0
		.amdhsa_exception_int_div_zero 0
	.end_amdhsa_kernel
	.section	.text._ZN9rocsparseL15scale_2d_kernelILj256EldEEvT0_S1_llNS_24const_host_device_scalarIT1_EEPS3_16rocsparse_order_b,"axG",@progbits,_ZN9rocsparseL15scale_2d_kernelILj256EldEEvT0_S1_llNS_24const_host_device_scalarIT1_EEPS3_16rocsparse_order_b,comdat
.Lfunc_end71:
	.size	_ZN9rocsparseL15scale_2d_kernelILj256EldEEvT0_S1_llNS_24const_host_device_scalarIT1_EEPS3_16rocsparse_order_b, .Lfunc_end71-_ZN9rocsparseL15scale_2d_kernelILj256EldEEvT0_S1_llNS_24const_host_device_scalarIT1_EEPS3_16rocsparse_order_b
                                        ; -- End function
	.set _ZN9rocsparseL15scale_2d_kernelILj256EldEEvT0_S1_llNS_24const_host_device_scalarIT1_EEPS3_16rocsparse_order_b.num_vgpr, 15
	.set _ZN9rocsparseL15scale_2d_kernelILj256EldEEvT0_S1_llNS_24const_host_device_scalarIT1_EEPS3_16rocsparse_order_b.num_agpr, 0
	.set _ZN9rocsparseL15scale_2d_kernelILj256EldEEvT0_S1_llNS_24const_host_device_scalarIT1_EEPS3_16rocsparse_order_b.numbered_sgpr, 25
	.set _ZN9rocsparseL15scale_2d_kernelILj256EldEEvT0_S1_llNS_24const_host_device_scalarIT1_EEPS3_16rocsparse_order_b.num_named_barrier, 0
	.set _ZN9rocsparseL15scale_2d_kernelILj256EldEEvT0_S1_llNS_24const_host_device_scalarIT1_EEPS3_16rocsparse_order_b.private_seg_size, 0
	.set _ZN9rocsparseL15scale_2d_kernelILj256EldEEvT0_S1_llNS_24const_host_device_scalarIT1_EEPS3_16rocsparse_order_b.uses_vcc, 1
	.set _ZN9rocsparseL15scale_2d_kernelILj256EldEEvT0_S1_llNS_24const_host_device_scalarIT1_EEPS3_16rocsparse_order_b.uses_flat_scratch, 0
	.set _ZN9rocsparseL15scale_2d_kernelILj256EldEEvT0_S1_llNS_24const_host_device_scalarIT1_EEPS3_16rocsparse_order_b.has_dyn_sized_stack, 0
	.set _ZN9rocsparseL15scale_2d_kernelILj256EldEEvT0_S1_llNS_24const_host_device_scalarIT1_EEPS3_16rocsparse_order_b.has_recursion, 0
	.set _ZN9rocsparseL15scale_2d_kernelILj256EldEEvT0_S1_llNS_24const_host_device_scalarIT1_EEPS3_16rocsparse_order_b.has_indirect_call, 0
	.section	.AMDGPU.csdata,"",@progbits
; Kernel info:
; codeLenInByte = 1088
; TotalNumSgprs: 27
; NumVgprs: 15
; ScratchSize: 0
; MemoryBound: 1
; FloatMode: 240
; IeeeMode: 1
; LDSByteSize: 0 bytes/workgroup (compile time only)
; SGPRBlocks: 0
; VGPRBlocks: 0
; NumSGPRsForWavesPerEU: 27
; NumVGPRsForWavesPerEU: 15
; NamedBarCnt: 0
; Occupancy: 16
; WaveLimiterHint : 0
; COMPUTE_PGM_RSRC2:SCRATCH_EN: 0
; COMPUTE_PGM_RSRC2:USER_SGPR: 2
; COMPUTE_PGM_RSRC2:TRAP_HANDLER: 0
; COMPUTE_PGM_RSRC2:TGID_X_EN: 1
; COMPUTE_PGM_RSRC2:TGID_Y_EN: 1
; COMPUTE_PGM_RSRC2:TGID_Z_EN: 0
; COMPUTE_PGM_RSRC2:TIDIG_COMP_CNT: 0
	.section	.text._ZN9rocsparseL15scale_2d_kernelILj256El21rocsparse_complex_numIfEEEvT0_S3_llNS_24const_host_device_scalarIT1_EEPS5_16rocsparse_order_b,"axG",@progbits,_ZN9rocsparseL15scale_2d_kernelILj256El21rocsparse_complex_numIfEEEvT0_S3_llNS_24const_host_device_scalarIT1_EEPS5_16rocsparse_order_b,comdat
	.globl	_ZN9rocsparseL15scale_2d_kernelILj256El21rocsparse_complex_numIfEEEvT0_S3_llNS_24const_host_device_scalarIT1_EEPS5_16rocsparse_order_b ; -- Begin function _ZN9rocsparseL15scale_2d_kernelILj256El21rocsparse_complex_numIfEEEvT0_S3_llNS_24const_host_device_scalarIT1_EEPS5_16rocsparse_order_b
	.p2align	8
	.type	_ZN9rocsparseL15scale_2d_kernelILj256El21rocsparse_complex_numIfEEEvT0_S3_llNS_24const_host_device_scalarIT1_EEPS5_16rocsparse_order_b,@function
_ZN9rocsparseL15scale_2d_kernelILj256El21rocsparse_complex_numIfEEEvT0_S3_llNS_24const_host_device_scalarIT1_EEPS5_16rocsparse_order_b: ; @_ZN9rocsparseL15scale_2d_kernelILj256El21rocsparse_complex_numIfEEEvT0_S3_llNS_24const_host_device_scalarIT1_EEPS5_16rocsparse_order_b
; %bb.0:
	s_clause 0x1
	s_load_b64 s[12:13], s[0:1], 0x30
	s_load_b64 s[2:3], s[0:1], 0x20
	v_mov_b32_e32 v1, 0
	s_add_nc_u64 s[4:5], s[0:1], 32
	s_wait_kmcnt 0x0
	s_bitcmp1_b32 s13, 0
	s_cselect_b32 s3, s5, s3
	s_cselect_b32 s2, s4, s2
	flat_load_b64 v[2:3], v1, s[2:3]
	s_wait_loadcnt_dscnt 0x0
	v_cmp_neq_f32_e32 vcc_lo, 1.0, v2
	v_cmp_neq_f32_e64 s2, 0, v3
	s_or_b32 s2, vcc_lo, s2
	s_delay_alu instid0(SALU_CYCLE_1)
	s_and_saveexec_b32 s3, s2
	s_cbranch_execz .LBB72_9
; %bb.1:
	s_load_b256 s[4:11], s[0:1], 0x0
	s_bfe_u32 s2, ttmp6, 0x4000c
	s_and_b32 s3, ttmp6, 15
	s_add_co_i32 s2, s2, 1
	s_getreg_b32 s14, hwreg(HW_REG_IB_STS2, 6, 4)
	s_mul_i32 s2, ttmp9, s2
	s_delay_alu instid0(SALU_CYCLE_1) | instskip(SKIP_2) | instid1(SALU_CYCLE_1)
	s_add_co_i32 s3, s3, s2
	s_cmp_eq_u32 s14, 0
	s_cselect_b32 s2, ttmp9, s3
	v_lshl_or_b32 v0, s2, 8, v0
	s_wait_kmcnt 0x0
	s_mul_u64 s[2:3], s[6:7], s[4:5]
	s_delay_alu instid0(VALU_DEP_1) | instid1(SALU_CYCLE_1)
	v_cmp_gt_i64_e32 vcc_lo, s[2:3], v[0:1]
	s_and_b32 exec_lo, exec_lo, vcc_lo
	s_cbranch_execz .LBB72_9
; %bb.2:
	s_cmp_eq_u32 s12, 1
	s_cselect_b32 s5, s5, s7
	s_cselect_b32 s4, s4, s6
	s_delay_alu instid0(SALU_CYCLE_1) | instskip(NEXT) | instid1(SALU_CYCLE_1)
	s_and_b64 s[2:3], s[4:5], 0xffffffff00000000
	s_cmp_lg_u64 s[2:3], 0
	s_cbranch_scc0 .LBB72_10
; %bb.3:
	s_ashr_i32 s6, s5, 31
	v_add_nc_u64_e32 v[4:5], 0, v[0:1]
	s_mov_b32 s7, s6
	v_mov_b32_e32 v7, 0
	s_add_nc_u64 s[2:3], s[4:5], s[6:7]
	s_delay_alu instid0(SALU_CYCLE_1) | instskip(NEXT) | instid1(VALU_DEP_2)
	s_xor_b64 s[12:13], s[2:3], s[6:7]
	v_mov_b32_e32 v6, v4
	s_cvt_f32_u32 s2, s12
	s_cvt_f32_u32 s3, s13
	s_sub_nc_u64 s[18:19], 0, s[12:13]
	s_delay_alu instid0(SALU_CYCLE_2) | instskip(NEXT) | instid1(SALU_CYCLE_3)
	s_fmamk_f32 s2, s3, 0x4f800000, s2
	v_s_rcp_f32 s2, s2
	s_delay_alu instid0(TRANS32_DEP_1) | instskip(NEXT) | instid1(SALU_CYCLE_3)
	s_mul_f32 s2, s2, 0x5f7ffffc
	s_mul_f32 s3, s2, 0x2f800000
	s_delay_alu instid0(SALU_CYCLE_3) | instskip(NEXT) | instid1(SALU_CYCLE_3)
	s_trunc_f32 s3, s3
	s_fmamk_f32 s2, s3, 0xcf800000, s2
	s_cvt_u32_f32 s17, s3
	s_mov_b32 s3, 0
	s_delay_alu instid0(SALU_CYCLE_1) | instskip(NEXT) | instid1(SALU_CYCLE_3)
	s_cvt_u32_f32 s16, s2
	s_mul_u64 s[20:21], s[18:19], s[16:17]
	s_delay_alu instid0(SALU_CYCLE_1)
	s_mul_hi_u32 s23, s16, s21
	s_mul_i32 s22, s16, s21
	s_mul_hi_u32 s2, s16, s20
	s_mul_i32 s15, s17, s20
	s_add_nc_u64 s[22:23], s[2:3], s[22:23]
	s_mul_hi_u32 s7, s17, s20
	s_mul_hi_u32 s24, s17, s21
	s_add_co_u32 s2, s22, s15
	s_add_co_ci_u32 s2, s23, s7
	s_mul_i32 s20, s17, s21
	s_add_co_ci_u32 s21, s24, 0
	s_delay_alu instid0(SALU_CYCLE_1) | instskip(NEXT) | instid1(SALU_CYCLE_1)
	s_add_nc_u64 s[20:21], s[2:3], s[20:21]
	s_add_co_u32 s16, s16, s20
	s_cselect_b32 s2, -1, 0
	s_delay_alu instid0(SALU_CYCLE_1) | instskip(SKIP_1) | instid1(SALU_CYCLE_1)
	s_cmp_lg_u32 s2, 0
	s_add_co_ci_u32 s17, s17, s21
	s_mul_u64 s[18:19], s[18:19], s[16:17]
	s_delay_alu instid0(SALU_CYCLE_1)
	s_mul_hi_u32 s21, s16, s19
	s_mul_i32 s20, s16, s19
	s_mul_hi_u32 s2, s16, s18
	s_mul_i32 s15, s17, s18
	s_add_nc_u64 s[20:21], s[2:3], s[20:21]
	s_mul_hi_u32 s7, s17, s18
	s_mul_hi_u32 s22, s17, s19
	s_add_co_u32 s2, s20, s15
	s_add_co_ci_u32 s2, s21, s7
	s_mul_i32 s18, s17, s19
	s_add_co_ci_u32 s19, s22, 0
	s_delay_alu instid0(SALU_CYCLE_1) | instskip(NEXT) | instid1(SALU_CYCLE_1)
	s_add_nc_u64 s[18:19], s[2:3], s[18:19]
	s_add_co_u32 s16, s16, s18
	s_cselect_b32 s2, -1, 0
	s_delay_alu instid0(SALU_CYCLE_1)
	s_cmp_lg_u32 s2, 0
	s_add_co_ci_u32 s2, s17, s19
	s_mov_b64 s[18:19], 0xffffffff
	v_nop
	v_mul_u64_e32 v[8:9], s[2:3], v[6:7]
	v_mul_hi_u32 v6, v4, s16
	s_and_b64 s[16:17], s[16:17], s[18:19]
	s_delay_alu instid0(VALU_DEP_1) | instskip(SKIP_1) | instid1(VALU_DEP_1)
	v_add_nc_u64_e32 v[8:9], v[6:7], v[8:9]
	v_mov_b32_e32 v6, v5
	v_mul_u64_e32 v[10:11], s[16:17], v[6:7]
	v_mul_u64_e32 v[12:13], s[2:3], v[6:7]
	s_delay_alu instid0(VALU_DEP_2) | instskip(NEXT) | instid1(VALU_DEP_3)
	v_add_co_u32 v6, vcc_lo, v8, v10
	v_add_co_ci_u32_e32 v6, vcc_lo, v9, v11, vcc_lo
	s_delay_alu instid0(VALU_DEP_3) | instskip(NEXT) | instid1(VALU_DEP_1)
	v_add_co_ci_u32_e32 v13, vcc_lo, 0, v13, vcc_lo
	v_add_nc_u64_e32 v[6:7], v[6:7], v[12:13]
	s_delay_alu instid0(VALU_DEP_1) | instskip(NEXT) | instid1(VALU_DEP_1)
	v_mul_u64_e32 v[8:9], s[12:13], v[6:7]
	v_sub_nc_u32_e32 v10, v5, v9
	s_delay_alu instid0(VALU_DEP_2) | instskip(NEXT) | instid1(VALU_DEP_1)
	v_sub_co_u32 v4, vcc_lo, v4, v8
	v_sub_co_ci_u32_e64 v9, null, v5, v9, vcc_lo
	s_delay_alu instid0(VALU_DEP_3) | instskip(NEXT) | instid1(VALU_DEP_3)
	v_subrev_co_ci_u32_e64 v8, null, s13, v10, vcc_lo
	v_sub_co_u32 v12, s2, v4, s12
	v_cmp_le_u32_e32 vcc_lo, s12, v4
	s_delay_alu instid0(VALU_DEP_3) | instskip(NEXT) | instid1(VALU_DEP_3)
	v_subrev_co_ci_u32_e64 v8, null, 0, v8, s2
	v_cmp_le_u32_e64 s2, s12, v12
	v_add_nc_u64_e32 v[10:11], 2, v[6:7]
	v_cndmask_b32_e64 v14, 0, -1, vcc_lo
	s_delay_alu instid0(VALU_DEP_4) | instskip(SKIP_3) | instid1(VALU_DEP_1)
	v_cmp_eq_u32_e32 vcc_lo, s13, v8
	v_add_nc_u64_e32 v[4:5], 1, v[6:7]
	v_cndmask_b32_e64 v12, 0, -1, s2
	v_cmp_le_u32_e64 s2, s13, v8
	v_cndmask_b32_e64 v13, 0, -1, s2
	v_cmp_eq_u32_e64 s2, s13, v9
	s_delay_alu instid0(VALU_DEP_2) | instskip(SKIP_2) | instid1(VALU_DEP_3)
	v_cndmask_b32_e32 v8, v13, v12, vcc_lo
	v_cmp_le_u32_e32 vcc_lo, s13, v9
	v_cndmask_b32_e64 v12, 0, -1, vcc_lo
	v_cmp_ne_u32_e32 vcc_lo, 0, v8
	s_delay_alu instid0(VALU_DEP_2) | instskip(SKIP_1) | instid1(VALU_DEP_2)
	v_dual_cndmask_b32 v8, v12, v14, s2 :: v_dual_cndmask_b32 v5, v5, v11, vcc_lo
	v_cndmask_b32_e32 v4, v4, v10, vcc_lo
	v_cmp_ne_u32_e32 vcc_lo, 0, v8
	s_delay_alu instid0(VALU_DEP_2) | instskip(SKIP_1) | instid1(VALU_DEP_2)
	v_dual_cndmask_b32 v7, v7, v5 :: v_dual_cndmask_b32 v6, v6, v4
	v_dual_mov_b32 v5, s6 :: v_dual_mov_b32 v4, s6
	v_xor_b32_e32 v7, s6, v7
	s_delay_alu instid0(VALU_DEP_3) | instskip(NEXT) | instid1(VALU_DEP_1)
	v_xor_b32_e32 v6, s6, v6
	v_sub_nc_u64_e32 v[4:5], v[6:7], v[4:5]
	s_load_b64 s[0:1], s[0:1], 0x28
	s_cbranch_execnz .LBB72_5
.LBB72_4:
	v_cvt_f32_u32_e32 v4, s4
	s_sub_co_i32 s2, 0, s4
	s_delay_alu instid0(VALU_DEP_1) | instskip(SKIP_1) | instid1(TRANS32_DEP_1)
	v_rcp_iflag_f32_e32 v4, v4
	v_nop
	v_mul_f32_e32 v4, 0x4f7ffffe, v4
	s_delay_alu instid0(VALU_DEP_1) | instskip(NEXT) | instid1(VALU_DEP_1)
	v_cvt_u32_f32_e32 v4, v4
	v_mul_lo_u32 v5, s2, v4
	s_delay_alu instid0(VALU_DEP_1) | instskip(NEXT) | instid1(VALU_DEP_1)
	v_mul_hi_u32 v5, v4, v5
	v_add_nc_u32_e32 v4, v4, v5
	s_delay_alu instid0(VALU_DEP_1) | instskip(NEXT) | instid1(VALU_DEP_1)
	v_mul_hi_u32 v4, v0, v4
	v_mul_lo_u32 v5, v4, s4
	s_delay_alu instid0(VALU_DEP_1) | instskip(NEXT) | instid1(VALU_DEP_1)
	v_dual_add_nc_u32 v6, 1, v4 :: v_dual_sub_nc_u32 v5, v0, v5
	v_subrev_nc_u32_e32 v7, s4, v5
	v_cmp_le_u32_e32 vcc_lo, s4, v5
	s_delay_alu instid0(VALU_DEP_2) | instskip(NEXT) | instid1(VALU_DEP_1)
	v_dual_cndmask_b32 v5, v5, v7 :: v_dual_cndmask_b32 v4, v4, v6
	v_cmp_le_u32_e32 vcc_lo, s4, v5
	s_delay_alu instid0(VALU_DEP_2) | instskip(NEXT) | instid1(VALU_DEP_1)
	v_dual_mov_b32 v5, 0 :: v_dual_add_nc_u32 v6, 1, v4
	v_cndmask_b32_e32 v4, v4, v6, vcc_lo
.LBB72_5:
	s_delay_alu instid0(VALU_DEP_1)
	v_mul_u64_e32 v[6:7], s[4:5], v[4:5]
	v_mul_u64_e32 v[4:5], s[8:9], v[4:5]
	s_bfe_u32 s2, ttmp6, 0x40010
	s_bfe_u32 s3, ttmp6, 0x40004
	s_add_co_i32 s2, s2, 1
	v_cmp_neq_f32_e32 vcc_lo, 0, v2
	s_mul_i32 s2, ttmp7, s2
	s_delay_alu instid0(VALU_DEP_3) | instskip(SKIP_1) | instid1(VALU_DEP_1)
	v_sub_nc_u64_e32 v[0:1], v[0:1], v[6:7]
	s_wait_kmcnt 0x0
	v_lshl_add_u64 v[0:1], v[0:1], 3, s[0:1]
	s_add_co_i32 s0, s3, s2
	s_cmp_eq_u32 s14, 0
	s_mov_b32 s3, 0
	s_cselect_b32 s2, ttmp7, s0
	s_delay_alu instid0(VALU_DEP_4) | instskip(SKIP_2) | instid1(SALU_CYCLE_1)
	v_lshl_add_u64 v[0:1], v[4:5], 3, v[0:1]
	v_cmp_neq_f32_e64 s0, 0, v3
	s_mul_u64 s[2:3], s[10:11], s[2:3]
	v_lshl_add_u64 v[0:1], s[2:3], 3, v[0:1]
	s_or_b32 s0, vcc_lo, s0
	s_delay_alu instid0(SALU_CYCLE_1) | instskip(NEXT) | instid1(SALU_CYCLE_1)
	s_and_saveexec_b32 s1, s0
	s_xor_b32 s0, exec_lo, s1
	s_cbranch_execz .LBB72_7
; %bb.6:
	global_load_b64 v[4:5], v[0:1], off
	v_mov_b32_e32 v6, v3
	s_wait_loadcnt 0x0
	s_delay_alu instid0(VALU_DEP_1) | instskip(NEXT) | instid1(VALU_DEP_1)
	v_pk_mul_f32 v[6:7], v[6:7], v[4:5] op_sel:[0,1] op_sel_hi:[0,0] neg_lo:[0,1]
	v_pk_fma_f32 v[2:3], v[4:5], v[2:3], v[6:7] op_sel_hi:[1,0,1]
	global_store_b64 v[0:1], v[2:3], off
                                        ; implicit-def: $vgpr0_vgpr1
.LBB72_7:
	s_wait_xcnt 0x0
	s_and_not1_saveexec_b32 s0, s0
	s_cbranch_execz .LBB72_9
; %bb.8:
	v_mov_b64_e32 v[2:3], 0
	global_store_b64 v[0:1], v[2:3], off
.LBB72_9:
	s_endpgm
.LBB72_10:
                                        ; implicit-def: $vgpr4_vgpr5
	s_load_b64 s[0:1], s[0:1], 0x28
	s_branch .LBB72_4
	.section	.rodata,"a",@progbits
	.p2align	6, 0x0
	.amdhsa_kernel _ZN9rocsparseL15scale_2d_kernelILj256El21rocsparse_complex_numIfEEEvT0_S3_llNS_24const_host_device_scalarIT1_EEPS5_16rocsparse_order_b
		.amdhsa_group_segment_fixed_size 0
		.amdhsa_private_segment_fixed_size 0
		.amdhsa_kernarg_size 56
		.amdhsa_user_sgpr_count 2
		.amdhsa_user_sgpr_dispatch_ptr 0
		.amdhsa_user_sgpr_queue_ptr 0
		.amdhsa_user_sgpr_kernarg_segment_ptr 1
		.amdhsa_user_sgpr_dispatch_id 0
		.amdhsa_user_sgpr_kernarg_preload_length 0
		.amdhsa_user_sgpr_kernarg_preload_offset 0
		.amdhsa_user_sgpr_private_segment_size 0
		.amdhsa_wavefront_size32 1
		.amdhsa_uses_dynamic_stack 0
		.amdhsa_enable_private_segment 0
		.amdhsa_system_sgpr_workgroup_id_x 1
		.amdhsa_system_sgpr_workgroup_id_y 1
		.amdhsa_system_sgpr_workgroup_id_z 0
		.amdhsa_system_sgpr_workgroup_info 0
		.amdhsa_system_vgpr_workitem_id 0
		.amdhsa_next_free_vgpr 15
		.amdhsa_next_free_sgpr 25
		.amdhsa_named_barrier_count 0
		.amdhsa_reserve_vcc 1
		.amdhsa_float_round_mode_32 0
		.amdhsa_float_round_mode_16_64 0
		.amdhsa_float_denorm_mode_32 3
		.amdhsa_float_denorm_mode_16_64 3
		.amdhsa_fp16_overflow 0
		.amdhsa_memory_ordered 1
		.amdhsa_forward_progress 1
		.amdhsa_inst_pref_size 9
		.amdhsa_round_robin_scheduling 0
		.amdhsa_exception_fp_ieee_invalid_op 0
		.amdhsa_exception_fp_denorm_src 0
		.amdhsa_exception_fp_ieee_div_zero 0
		.amdhsa_exception_fp_ieee_overflow 0
		.amdhsa_exception_fp_ieee_underflow 0
		.amdhsa_exception_fp_ieee_inexact 0
		.amdhsa_exception_int_div_zero 0
	.end_amdhsa_kernel
	.section	.text._ZN9rocsparseL15scale_2d_kernelILj256El21rocsparse_complex_numIfEEEvT0_S3_llNS_24const_host_device_scalarIT1_EEPS5_16rocsparse_order_b,"axG",@progbits,_ZN9rocsparseL15scale_2d_kernelILj256El21rocsparse_complex_numIfEEEvT0_S3_llNS_24const_host_device_scalarIT1_EEPS5_16rocsparse_order_b,comdat
.Lfunc_end72:
	.size	_ZN9rocsparseL15scale_2d_kernelILj256El21rocsparse_complex_numIfEEEvT0_S3_llNS_24const_host_device_scalarIT1_EEPS5_16rocsparse_order_b, .Lfunc_end72-_ZN9rocsparseL15scale_2d_kernelILj256El21rocsparse_complex_numIfEEEvT0_S3_llNS_24const_host_device_scalarIT1_EEPS5_16rocsparse_order_b
                                        ; -- End function
	.set _ZN9rocsparseL15scale_2d_kernelILj256El21rocsparse_complex_numIfEEEvT0_S3_llNS_24const_host_device_scalarIT1_EEPS5_16rocsparse_order_b.num_vgpr, 15
	.set _ZN9rocsparseL15scale_2d_kernelILj256El21rocsparse_complex_numIfEEEvT0_S3_llNS_24const_host_device_scalarIT1_EEPS5_16rocsparse_order_b.num_agpr, 0
	.set _ZN9rocsparseL15scale_2d_kernelILj256El21rocsparse_complex_numIfEEEvT0_S3_llNS_24const_host_device_scalarIT1_EEPS5_16rocsparse_order_b.numbered_sgpr, 25
	.set _ZN9rocsparseL15scale_2d_kernelILj256El21rocsparse_complex_numIfEEEvT0_S3_llNS_24const_host_device_scalarIT1_EEPS5_16rocsparse_order_b.num_named_barrier, 0
	.set _ZN9rocsparseL15scale_2d_kernelILj256El21rocsparse_complex_numIfEEEvT0_S3_llNS_24const_host_device_scalarIT1_EEPS5_16rocsparse_order_b.private_seg_size, 0
	.set _ZN9rocsparseL15scale_2d_kernelILj256El21rocsparse_complex_numIfEEEvT0_S3_llNS_24const_host_device_scalarIT1_EEPS5_16rocsparse_order_b.uses_vcc, 1
	.set _ZN9rocsparseL15scale_2d_kernelILj256El21rocsparse_complex_numIfEEEvT0_S3_llNS_24const_host_device_scalarIT1_EEPS5_16rocsparse_order_b.uses_flat_scratch, 0
	.set _ZN9rocsparseL15scale_2d_kernelILj256El21rocsparse_complex_numIfEEEvT0_S3_llNS_24const_host_device_scalarIT1_EEPS5_16rocsparse_order_b.has_dyn_sized_stack, 0
	.set _ZN9rocsparseL15scale_2d_kernelILj256El21rocsparse_complex_numIfEEEvT0_S3_llNS_24const_host_device_scalarIT1_EEPS5_16rocsparse_order_b.has_recursion, 0
	.set _ZN9rocsparseL15scale_2d_kernelILj256El21rocsparse_complex_numIfEEEvT0_S3_llNS_24const_host_device_scalarIT1_EEPS5_16rocsparse_order_b.has_indirect_call, 0
	.section	.AMDGPU.csdata,"",@progbits
; Kernel info:
; codeLenInByte = 1144
; TotalNumSgprs: 27
; NumVgprs: 15
; ScratchSize: 0
; MemoryBound: 0
; FloatMode: 240
; IeeeMode: 1
; LDSByteSize: 0 bytes/workgroup (compile time only)
; SGPRBlocks: 0
; VGPRBlocks: 0
; NumSGPRsForWavesPerEU: 27
; NumVGPRsForWavesPerEU: 15
; NamedBarCnt: 0
; Occupancy: 16
; WaveLimiterHint : 0
; COMPUTE_PGM_RSRC2:SCRATCH_EN: 0
; COMPUTE_PGM_RSRC2:USER_SGPR: 2
; COMPUTE_PGM_RSRC2:TRAP_HANDLER: 0
; COMPUTE_PGM_RSRC2:TGID_X_EN: 1
; COMPUTE_PGM_RSRC2:TGID_Y_EN: 1
; COMPUTE_PGM_RSRC2:TGID_Z_EN: 0
; COMPUTE_PGM_RSRC2:TIDIG_COMP_CNT: 0
	.section	.text._ZN9rocsparseL15scale_2d_kernelILj256El21rocsparse_complex_numIdEEEvT0_S3_llNS_24const_host_device_scalarIT1_EEPS5_16rocsparse_order_b,"axG",@progbits,_ZN9rocsparseL15scale_2d_kernelILj256El21rocsparse_complex_numIdEEEvT0_S3_llNS_24const_host_device_scalarIT1_EEPS5_16rocsparse_order_b,comdat
	.globl	_ZN9rocsparseL15scale_2d_kernelILj256El21rocsparse_complex_numIdEEEvT0_S3_llNS_24const_host_device_scalarIT1_EEPS5_16rocsparse_order_b ; -- Begin function _ZN9rocsparseL15scale_2d_kernelILj256El21rocsparse_complex_numIdEEEvT0_S3_llNS_24const_host_device_scalarIT1_EEPS5_16rocsparse_order_b
	.p2align	8
	.type	_ZN9rocsparseL15scale_2d_kernelILj256El21rocsparse_complex_numIdEEEvT0_S3_llNS_24const_host_device_scalarIT1_EEPS5_16rocsparse_order_b,@function
_ZN9rocsparseL15scale_2d_kernelILj256El21rocsparse_complex_numIdEEEvT0_S3_llNS_24const_host_device_scalarIT1_EEPS5_16rocsparse_order_b: ; @_ZN9rocsparseL15scale_2d_kernelILj256El21rocsparse_complex_numIdEEEvT0_S3_llNS_24const_host_device_scalarIT1_EEPS5_16rocsparse_order_b
; %bb.0:
	s_clause 0x1
	s_load_b64 s[12:13], s[0:1], 0x38
	s_load_b64 s[2:3], s[0:1], 0x20
	v_mov_b32_e32 v1, 0
	s_add_nc_u64 s[4:5], s[0:1], 32
	s_wait_kmcnt 0x0
	s_bitcmp1_b32 s13, 0
	s_cselect_b32 s3, s5, s3
	s_cselect_b32 s2, s4, s2
	flat_load_b128 v[2:5], v1, s[2:3]
	s_wait_loadcnt_dscnt 0x0
	v_cmp_neq_f64_e32 vcc_lo, 1.0, v[2:3]
	v_cmp_neq_f64_e64 s2, 0, v[4:5]
	s_or_b32 s2, vcc_lo, s2
	s_delay_alu instid0(SALU_CYCLE_1)
	s_and_saveexec_b32 s3, s2
	s_cbranch_execz .LBB73_8
; %bb.1:
	s_load_b256 s[4:11], s[0:1], 0x0
	s_bfe_u32 s2, ttmp6, 0x4000c
	s_and_b32 s3, ttmp6, 15
	s_add_co_i32 s2, s2, 1
	s_getreg_b32 s14, hwreg(HW_REG_IB_STS2, 6, 4)
	s_mul_i32 s2, ttmp9, s2
	s_delay_alu instid0(SALU_CYCLE_1) | instskip(SKIP_2) | instid1(SALU_CYCLE_1)
	s_add_co_i32 s3, s3, s2
	s_cmp_eq_u32 s14, 0
	s_cselect_b32 s2, ttmp9, s3
	v_lshl_or_b32 v0, s2, 8, v0
	s_wait_kmcnt 0x0
	s_mul_u64 s[2:3], s[6:7], s[4:5]
	s_delay_alu instid0(VALU_DEP_1) | instid1(SALU_CYCLE_1)
	v_cmp_gt_i64_e32 vcc_lo, s[2:3], v[0:1]
	s_and_b32 exec_lo, exec_lo, vcc_lo
	s_cbranch_execz .LBB73_8
; %bb.2:
	s_cmp_eq_u32 s12, 1
	s_cselect_b32 s5, s5, s7
	s_cselect_b32 s4, s4, s6
	s_delay_alu instid0(SALU_CYCLE_1) | instskip(NEXT) | instid1(SALU_CYCLE_1)
	s_and_b64 s[2:3], s[4:5], 0xffffffff00000000
	s_cmp_lg_u64 s[2:3], 0
	s_cbranch_scc0 .LBB73_9
; %bb.3:
	s_ashr_i32 s6, s5, 31
	v_add_nc_u64_e32 v[6:7], 0, v[0:1]
	s_mov_b32 s7, s6
	v_mov_b32_e32 v9, 0
	s_add_nc_u64 s[2:3], s[4:5], s[6:7]
	s_delay_alu instid0(SALU_CYCLE_1) | instskip(NEXT) | instid1(VALU_DEP_2)
	s_xor_b64 s[12:13], s[2:3], s[6:7]
	v_mov_b32_e32 v8, v6
	s_cvt_f32_u32 s2, s12
	s_cvt_f32_u32 s3, s13
	s_sub_nc_u64 s[18:19], 0, s[12:13]
	s_delay_alu instid0(SALU_CYCLE_2) | instskip(NEXT) | instid1(SALU_CYCLE_3)
	s_fmamk_f32 s2, s3, 0x4f800000, s2
	v_s_rcp_f32 s2, s2
	s_delay_alu instid0(TRANS32_DEP_1) | instskip(NEXT) | instid1(SALU_CYCLE_3)
	s_mul_f32 s2, s2, 0x5f7ffffc
	s_mul_f32 s3, s2, 0x2f800000
	s_delay_alu instid0(SALU_CYCLE_3) | instskip(NEXT) | instid1(SALU_CYCLE_3)
	s_trunc_f32 s3, s3
	s_fmamk_f32 s2, s3, 0xcf800000, s2
	s_cvt_u32_f32 s17, s3
	s_mov_b32 s3, 0
	s_delay_alu instid0(SALU_CYCLE_1) | instskip(NEXT) | instid1(SALU_CYCLE_3)
	s_cvt_u32_f32 s16, s2
	s_mul_u64 s[20:21], s[18:19], s[16:17]
	s_delay_alu instid0(SALU_CYCLE_1)
	s_mul_hi_u32 s23, s16, s21
	s_mul_i32 s22, s16, s21
	s_mul_hi_u32 s2, s16, s20
	s_mul_i32 s15, s17, s20
	s_add_nc_u64 s[22:23], s[2:3], s[22:23]
	s_mul_hi_u32 s7, s17, s20
	s_mul_hi_u32 s24, s17, s21
	s_add_co_u32 s2, s22, s15
	s_add_co_ci_u32 s2, s23, s7
	s_mul_i32 s20, s17, s21
	s_add_co_ci_u32 s21, s24, 0
	s_delay_alu instid0(SALU_CYCLE_1) | instskip(NEXT) | instid1(SALU_CYCLE_1)
	s_add_nc_u64 s[20:21], s[2:3], s[20:21]
	s_add_co_u32 s16, s16, s20
	s_cselect_b32 s2, -1, 0
	s_delay_alu instid0(SALU_CYCLE_1) | instskip(SKIP_1) | instid1(SALU_CYCLE_1)
	s_cmp_lg_u32 s2, 0
	s_add_co_ci_u32 s17, s17, s21
	s_mul_u64 s[18:19], s[18:19], s[16:17]
	s_delay_alu instid0(SALU_CYCLE_1)
	s_mul_hi_u32 s21, s16, s19
	s_mul_i32 s20, s16, s19
	s_mul_hi_u32 s2, s16, s18
	s_mul_i32 s15, s17, s18
	s_add_nc_u64 s[20:21], s[2:3], s[20:21]
	s_mul_hi_u32 s7, s17, s18
	s_mul_hi_u32 s22, s17, s19
	s_add_co_u32 s2, s20, s15
	s_add_co_ci_u32 s2, s21, s7
	s_mul_i32 s18, s17, s19
	s_add_co_ci_u32 s19, s22, 0
	s_delay_alu instid0(SALU_CYCLE_1) | instskip(NEXT) | instid1(SALU_CYCLE_1)
	s_add_nc_u64 s[18:19], s[2:3], s[18:19]
	s_add_co_u32 s16, s16, s18
	s_cselect_b32 s2, -1, 0
	s_delay_alu instid0(SALU_CYCLE_1)
	s_cmp_lg_u32 s2, 0
	s_add_co_ci_u32 s2, s17, s19
	s_mov_b64 s[18:19], 0xffffffff
	v_nop
	v_mul_u64_e32 v[10:11], s[2:3], v[8:9]
	v_mul_hi_u32 v8, v6, s16
	s_and_b64 s[16:17], s[16:17], s[18:19]
	s_delay_alu instid0(VALU_DEP_1) | instskip(SKIP_1) | instid1(VALU_DEP_1)
	v_add_nc_u64_e32 v[10:11], v[8:9], v[10:11]
	v_mov_b32_e32 v8, v7
	v_mul_u64_e32 v[12:13], s[16:17], v[8:9]
	v_mul_u64_e32 v[14:15], s[2:3], v[8:9]
	s_delay_alu instid0(VALU_DEP_2) | instskip(NEXT) | instid1(VALU_DEP_3)
	v_add_co_u32 v8, vcc_lo, v10, v12
	v_add_co_ci_u32_e32 v8, vcc_lo, v11, v13, vcc_lo
	s_delay_alu instid0(VALU_DEP_3) | instskip(NEXT) | instid1(VALU_DEP_1)
	v_add_co_ci_u32_e32 v15, vcc_lo, 0, v15, vcc_lo
	v_add_nc_u64_e32 v[8:9], v[8:9], v[14:15]
	s_delay_alu instid0(VALU_DEP_1) | instskip(NEXT) | instid1(VALU_DEP_1)
	v_mul_u64_e32 v[10:11], s[12:13], v[8:9]
	v_sub_nc_u32_e32 v12, v7, v11
	s_delay_alu instid0(VALU_DEP_2) | instskip(NEXT) | instid1(VALU_DEP_1)
	v_sub_co_u32 v6, vcc_lo, v6, v10
	v_sub_co_ci_u32_e64 v11, null, v7, v11, vcc_lo
	s_delay_alu instid0(VALU_DEP_3) | instskip(NEXT) | instid1(VALU_DEP_3)
	v_subrev_co_ci_u32_e64 v10, null, s13, v12, vcc_lo
	v_sub_co_u32 v14, s2, v6, s12
	v_cmp_le_u32_e32 vcc_lo, s12, v6
	s_delay_alu instid0(VALU_DEP_3) | instskip(NEXT) | instid1(VALU_DEP_3)
	v_subrev_co_ci_u32_e64 v10, null, 0, v10, s2
	v_cmp_le_u32_e64 s2, s12, v14
	v_add_nc_u64_e32 v[12:13], 2, v[8:9]
	v_cndmask_b32_e64 v16, 0, -1, vcc_lo
	s_delay_alu instid0(VALU_DEP_4) | instskip(SKIP_3) | instid1(VALU_DEP_1)
	v_cmp_eq_u32_e32 vcc_lo, s13, v10
	v_add_nc_u64_e32 v[6:7], 1, v[8:9]
	v_cndmask_b32_e64 v14, 0, -1, s2
	v_cmp_le_u32_e64 s2, s13, v10
	v_cndmask_b32_e64 v15, 0, -1, s2
	v_cmp_eq_u32_e64 s2, s13, v11
	s_delay_alu instid0(VALU_DEP_2) | instskip(SKIP_2) | instid1(VALU_DEP_3)
	v_cndmask_b32_e32 v10, v15, v14, vcc_lo
	v_cmp_le_u32_e32 vcc_lo, s13, v11
	v_cndmask_b32_e64 v14, 0, -1, vcc_lo
	v_cmp_ne_u32_e32 vcc_lo, 0, v10
	s_delay_alu instid0(VALU_DEP_2) | instskip(SKIP_1) | instid1(VALU_DEP_2)
	v_dual_cndmask_b32 v10, v14, v16, s2 :: v_dual_cndmask_b32 v7, v7, v13, vcc_lo
	v_cndmask_b32_e32 v6, v6, v12, vcc_lo
	v_cmp_ne_u32_e32 vcc_lo, 0, v10
	s_delay_alu instid0(VALU_DEP_2) | instskip(SKIP_1) | instid1(VALU_DEP_2)
	v_dual_cndmask_b32 v9, v9, v7 :: v_dual_cndmask_b32 v8, v8, v6
	v_dual_mov_b32 v7, s6 :: v_dual_mov_b32 v6, s6
	v_xor_b32_e32 v9, s6, v9
	s_delay_alu instid0(VALU_DEP_3) | instskip(NEXT) | instid1(VALU_DEP_1)
	v_xor_b32_e32 v8, s6, v8
	v_sub_nc_u64_e32 v[6:7], v[8:9], v[6:7]
	s_load_b64 s[6:7], s[0:1], 0x30
	s_cbranch_execnz .LBB73_5
.LBB73_4:
	v_cvt_f32_u32_e32 v6, s4
	s_wait_xcnt 0x0
	s_sub_co_i32 s0, 0, s4
	s_delay_alu instid0(VALU_DEP_1) | instskip(SKIP_1) | instid1(TRANS32_DEP_1)
	v_rcp_iflag_f32_e32 v6, v6
	v_nop
	v_mul_f32_e32 v6, 0x4f7ffffe, v6
	s_delay_alu instid0(VALU_DEP_1) | instskip(NEXT) | instid1(VALU_DEP_1)
	v_cvt_u32_f32_e32 v6, v6
	v_mul_lo_u32 v7, s0, v6
	s_delay_alu instid0(VALU_DEP_1) | instskip(NEXT) | instid1(VALU_DEP_1)
	v_mul_hi_u32 v7, v6, v7
	v_add_nc_u32_e32 v6, v6, v7
	s_delay_alu instid0(VALU_DEP_1) | instskip(NEXT) | instid1(VALU_DEP_1)
	v_mul_hi_u32 v6, v0, v6
	v_mul_lo_u32 v7, v6, s4
	s_delay_alu instid0(VALU_DEP_1) | instskip(NEXT) | instid1(VALU_DEP_1)
	v_dual_add_nc_u32 v8, 1, v6 :: v_dual_sub_nc_u32 v7, v0, v7
	v_subrev_nc_u32_e32 v9, s4, v7
	v_cmp_le_u32_e32 vcc_lo, s4, v7
	s_delay_alu instid0(VALU_DEP_2) | instskip(NEXT) | instid1(VALU_DEP_1)
	v_dual_cndmask_b32 v7, v7, v9 :: v_dual_cndmask_b32 v6, v6, v8
	v_cmp_le_u32_e32 vcc_lo, s4, v7
	s_delay_alu instid0(VALU_DEP_2) | instskip(NEXT) | instid1(VALU_DEP_1)
	v_dual_mov_b32 v7, 0 :: v_dual_add_nc_u32 v8, 1, v6
	v_cndmask_b32_e32 v6, v6, v8, vcc_lo
.LBB73_5:
	s_delay_alu instid0(VALU_DEP_1)
	v_mul_u64_e32 v[8:9], s[4:5], v[6:7]
	v_mul_u64_e32 v[6:7], s[8:9], v[6:7]
	v_cmp_neq_f64_e32 vcc_lo, 0, v[2:3]
	s_wait_xcnt 0x0
	v_cmp_neq_f64_e64 s0, 0, v[4:5]
	s_bfe_u32 s1, ttmp6, 0x40010
	s_bfe_u32 s2, ttmp6, 0x40004
	s_add_co_i32 s1, s1, 1
	s_mov_b32 s3, 0
	s_mul_i32 s1, ttmp7, s1
	s_delay_alu instid0(SALU_CYCLE_1) | instskip(SKIP_2) | instid1(SALU_CYCLE_1)
	s_add_co_i32 s2, s2, s1
	s_cmp_eq_u32 s14, 0
	s_cselect_b32 s2, ttmp7, s2
	s_mul_u64 s[2:3], s[10:11], s[2:3]
	v_sub_nc_u64_e32 v[0:1], v[0:1], v[8:9]
	v_mov_b64_e32 v[8:9], 0
	s_or_b32 s1, vcc_lo, s0
	s_wait_kmcnt 0x0
	s_delay_alu instid0(VALU_DEP_2) | instskip(NEXT) | instid1(VALU_DEP_1)
	v_lshl_add_u64 v[0:1], v[0:1], 4, s[6:7]
	v_lshl_add_u64 v[0:1], v[6:7], 4, v[0:1]
	v_mov_b64_e32 v[6:7], 0
	s_delay_alu instid0(VALU_DEP_2)
	v_lshl_add_u64 v[0:1], s[2:3], 4, v[0:1]
	s_and_saveexec_b32 s0, s1
	s_cbranch_execz .LBB73_7
; %bb.6:
	global_load_b128 v[10:13], v[0:1], off
	s_wait_loadcnt 0x0
	v_mul_f64_e64 v[6:7], v[4:5], -v[12:13]
	v_mul_f64_e32 v[8:9], v[4:5], v[10:11]
	s_delay_alu instid0(VALU_DEP_2) | instskip(NEXT) | instid1(VALU_DEP_2)
	v_fmac_f64_e32 v[6:7], v[10:11], v[2:3]
	v_fmac_f64_e32 v[8:9], v[12:13], v[2:3]
.LBB73_7:
	s_or_b32 exec_lo, exec_lo, s0
	global_store_b128 v[0:1], v[6:9], off
.LBB73_8:
	s_endpgm
.LBB73_9:
                                        ; implicit-def: $vgpr6_vgpr7
	s_load_b64 s[6:7], s[0:1], 0x30
	s_branch .LBB73_4
	.section	.rodata,"a",@progbits
	.p2align	6, 0x0
	.amdhsa_kernel _ZN9rocsparseL15scale_2d_kernelILj256El21rocsparse_complex_numIdEEEvT0_S3_llNS_24const_host_device_scalarIT1_EEPS5_16rocsparse_order_b
		.amdhsa_group_segment_fixed_size 0
		.amdhsa_private_segment_fixed_size 0
		.amdhsa_kernarg_size 64
		.amdhsa_user_sgpr_count 2
		.amdhsa_user_sgpr_dispatch_ptr 0
		.amdhsa_user_sgpr_queue_ptr 0
		.amdhsa_user_sgpr_kernarg_segment_ptr 1
		.amdhsa_user_sgpr_dispatch_id 0
		.amdhsa_user_sgpr_kernarg_preload_length 0
		.amdhsa_user_sgpr_kernarg_preload_offset 0
		.amdhsa_user_sgpr_private_segment_size 0
		.amdhsa_wavefront_size32 1
		.amdhsa_uses_dynamic_stack 0
		.amdhsa_enable_private_segment 0
		.amdhsa_system_sgpr_workgroup_id_x 1
		.amdhsa_system_sgpr_workgroup_id_y 1
		.amdhsa_system_sgpr_workgroup_id_z 0
		.amdhsa_system_sgpr_workgroup_info 0
		.amdhsa_system_vgpr_workitem_id 0
		.amdhsa_next_free_vgpr 17
		.amdhsa_next_free_sgpr 25
		.amdhsa_named_barrier_count 0
		.amdhsa_reserve_vcc 1
		.amdhsa_float_round_mode_32 0
		.amdhsa_float_round_mode_16_64 0
		.amdhsa_float_denorm_mode_32 3
		.amdhsa_float_denorm_mode_16_64 3
		.amdhsa_fp16_overflow 0
		.amdhsa_memory_ordered 1
		.amdhsa_forward_progress 1
		.amdhsa_inst_pref_size 9
		.amdhsa_round_robin_scheduling 0
		.amdhsa_exception_fp_ieee_invalid_op 0
		.amdhsa_exception_fp_denorm_src 0
		.amdhsa_exception_fp_ieee_div_zero 0
		.amdhsa_exception_fp_ieee_overflow 0
		.amdhsa_exception_fp_ieee_underflow 0
		.amdhsa_exception_fp_ieee_inexact 0
		.amdhsa_exception_int_div_zero 0
	.end_amdhsa_kernel
	.section	.text._ZN9rocsparseL15scale_2d_kernelILj256El21rocsparse_complex_numIdEEEvT0_S3_llNS_24const_host_device_scalarIT1_EEPS5_16rocsparse_order_b,"axG",@progbits,_ZN9rocsparseL15scale_2d_kernelILj256El21rocsparse_complex_numIdEEEvT0_S3_llNS_24const_host_device_scalarIT1_EEPS5_16rocsparse_order_b,comdat
.Lfunc_end73:
	.size	_ZN9rocsparseL15scale_2d_kernelILj256El21rocsparse_complex_numIdEEEvT0_S3_llNS_24const_host_device_scalarIT1_EEPS5_16rocsparse_order_b, .Lfunc_end73-_ZN9rocsparseL15scale_2d_kernelILj256El21rocsparse_complex_numIdEEEvT0_S3_llNS_24const_host_device_scalarIT1_EEPS5_16rocsparse_order_b
                                        ; -- End function
	.set _ZN9rocsparseL15scale_2d_kernelILj256El21rocsparse_complex_numIdEEEvT0_S3_llNS_24const_host_device_scalarIT1_EEPS5_16rocsparse_order_b.num_vgpr, 17
	.set _ZN9rocsparseL15scale_2d_kernelILj256El21rocsparse_complex_numIdEEEvT0_S3_llNS_24const_host_device_scalarIT1_EEPS5_16rocsparse_order_b.num_agpr, 0
	.set _ZN9rocsparseL15scale_2d_kernelILj256El21rocsparse_complex_numIdEEEvT0_S3_llNS_24const_host_device_scalarIT1_EEPS5_16rocsparse_order_b.numbered_sgpr, 25
	.set _ZN9rocsparseL15scale_2d_kernelILj256El21rocsparse_complex_numIdEEEvT0_S3_llNS_24const_host_device_scalarIT1_EEPS5_16rocsparse_order_b.num_named_barrier, 0
	.set _ZN9rocsparseL15scale_2d_kernelILj256El21rocsparse_complex_numIdEEEvT0_S3_llNS_24const_host_device_scalarIT1_EEPS5_16rocsparse_order_b.private_seg_size, 0
	.set _ZN9rocsparseL15scale_2d_kernelILj256El21rocsparse_complex_numIdEEEvT0_S3_llNS_24const_host_device_scalarIT1_EEPS5_16rocsparse_order_b.uses_vcc, 1
	.set _ZN9rocsparseL15scale_2d_kernelILj256El21rocsparse_complex_numIdEEEvT0_S3_llNS_24const_host_device_scalarIT1_EEPS5_16rocsparse_order_b.uses_flat_scratch, 0
	.set _ZN9rocsparseL15scale_2d_kernelILj256El21rocsparse_complex_numIdEEEvT0_S3_llNS_24const_host_device_scalarIT1_EEPS5_16rocsparse_order_b.has_dyn_sized_stack, 0
	.set _ZN9rocsparseL15scale_2d_kernelILj256El21rocsparse_complex_numIdEEEvT0_S3_llNS_24const_host_device_scalarIT1_EEPS5_16rocsparse_order_b.has_recursion, 0
	.set _ZN9rocsparseL15scale_2d_kernelILj256El21rocsparse_complex_numIdEEEvT0_S3_llNS_24const_host_device_scalarIT1_EEPS5_16rocsparse_order_b.has_indirect_call, 0
	.section	.AMDGPU.csdata,"",@progbits
; Kernel info:
; codeLenInByte = 1132
; TotalNumSgprs: 27
; NumVgprs: 17
; ScratchSize: 0
; MemoryBound: 0
; FloatMode: 240
; IeeeMode: 1
; LDSByteSize: 0 bytes/workgroup (compile time only)
; SGPRBlocks: 0
; VGPRBlocks: 1
; NumSGPRsForWavesPerEU: 27
; NumVGPRsForWavesPerEU: 17
; NamedBarCnt: 0
; Occupancy: 16
; WaveLimiterHint : 0
; COMPUTE_PGM_RSRC2:SCRATCH_EN: 0
; COMPUTE_PGM_RSRC2:USER_SGPR: 2
; COMPUTE_PGM_RSRC2:TRAP_HANDLER: 0
; COMPUTE_PGM_RSRC2:TGID_X_EN: 1
; COMPUTE_PGM_RSRC2:TGID_Y_EN: 1
; COMPUTE_PGM_RSRC2:TGID_Z_EN: 0
; COMPUTE_PGM_RSRC2:TIDIG_COMP_CNT: 0
	.section	.text._ZN9rocsparseL11copy_kernelILj256EiiEEvlPKT0_PT1_21rocsparse_index_base_S6_,"axG",@progbits,_ZN9rocsparseL11copy_kernelILj256EiiEEvlPKT0_PT1_21rocsparse_index_base_S6_,comdat
	.globl	_ZN9rocsparseL11copy_kernelILj256EiiEEvlPKT0_PT1_21rocsparse_index_base_S6_ ; -- Begin function _ZN9rocsparseL11copy_kernelILj256EiiEEvlPKT0_PT1_21rocsparse_index_base_S6_
	.p2align	8
	.type	_ZN9rocsparseL11copy_kernelILj256EiiEEvlPKT0_PT1_21rocsparse_index_base_S6_,@function
_ZN9rocsparseL11copy_kernelILj256EiiEEvlPKT0_PT1_21rocsparse_index_base_S6_: ; @_ZN9rocsparseL11copy_kernelILj256EiiEEvlPKT0_PT1_21rocsparse_index_base_S6_
; %bb.0:
	s_load_b128 s[4:7], s[0:1], 0x0
	s_bfe_u32 s2, ttmp6, 0x4000c
	s_and_b32 s3, ttmp6, 15
	s_add_co_i32 s2, s2, 1
	s_getreg_b32 s8, hwreg(HW_REG_IB_STS2, 6, 4)
	s_mul_i32 s2, ttmp9, s2
	v_mov_b32_e32 v1, 0
	s_add_co_i32 s3, s3, s2
	s_cmp_eq_u32 s8, 0
	s_cselect_b32 s2, ttmp9, s3
	s_delay_alu instid0(SALU_CYCLE_1) | instskip(SKIP_2) | instid1(VALU_DEP_1)
	v_lshl_or_b32 v0, s2, 8, v0
	s_mov_b32 s2, exec_lo
	s_wait_kmcnt 0x0
	v_cmpx_gt_i64_e64 s[4:5], v[0:1]
	s_cbranch_execz .LBB74_2
; %bb.1:
	v_lshlrev_b64_e32 v[0:1], 2, v[0:1]
	s_load_b128 s[0:3], s[0:1], 0x10
	s_delay_alu instid0(VALU_DEP_1)
	v_add_nc_u64_e32 v[2:3], s[6:7], v[0:1]
	global_load_b32 v2, v[2:3], off
	s_wait_kmcnt 0x0
	s_sub_co_i32 s2, s3, s2
	v_add_nc_u64_e32 v[0:1], s[0:1], v[0:1]
	s_wait_loadcnt 0x0
	v_add_nc_u32_e32 v2, s2, v2
	global_store_b32 v[0:1], v2, off
.LBB74_2:
	s_endpgm
	.section	.rodata,"a",@progbits
	.p2align	6, 0x0
	.amdhsa_kernel _ZN9rocsparseL11copy_kernelILj256EiiEEvlPKT0_PT1_21rocsparse_index_base_S6_
		.amdhsa_group_segment_fixed_size 0
		.amdhsa_private_segment_fixed_size 0
		.amdhsa_kernarg_size 32
		.amdhsa_user_sgpr_count 2
		.amdhsa_user_sgpr_dispatch_ptr 0
		.amdhsa_user_sgpr_queue_ptr 0
		.amdhsa_user_sgpr_kernarg_segment_ptr 1
		.amdhsa_user_sgpr_dispatch_id 0
		.amdhsa_user_sgpr_kernarg_preload_length 0
		.amdhsa_user_sgpr_kernarg_preload_offset 0
		.amdhsa_user_sgpr_private_segment_size 0
		.amdhsa_wavefront_size32 1
		.amdhsa_uses_dynamic_stack 0
		.amdhsa_enable_private_segment 0
		.amdhsa_system_sgpr_workgroup_id_x 1
		.amdhsa_system_sgpr_workgroup_id_y 0
		.amdhsa_system_sgpr_workgroup_id_z 0
		.amdhsa_system_sgpr_workgroup_info 0
		.amdhsa_system_vgpr_workitem_id 0
		.amdhsa_next_free_vgpr 4
		.amdhsa_next_free_sgpr 9
		.amdhsa_named_barrier_count 0
		.amdhsa_reserve_vcc 0
		.amdhsa_float_round_mode_32 0
		.amdhsa_float_round_mode_16_64 0
		.amdhsa_float_denorm_mode_32 3
		.amdhsa_float_denorm_mode_16_64 3
		.amdhsa_fp16_overflow 0
		.amdhsa_memory_ordered 1
		.amdhsa_forward_progress 1
		.amdhsa_inst_pref_size 2
		.amdhsa_round_robin_scheduling 0
		.amdhsa_exception_fp_ieee_invalid_op 0
		.amdhsa_exception_fp_denorm_src 0
		.amdhsa_exception_fp_ieee_div_zero 0
		.amdhsa_exception_fp_ieee_overflow 0
		.amdhsa_exception_fp_ieee_underflow 0
		.amdhsa_exception_fp_ieee_inexact 0
		.amdhsa_exception_int_div_zero 0
	.end_amdhsa_kernel
	.section	.text._ZN9rocsparseL11copy_kernelILj256EiiEEvlPKT0_PT1_21rocsparse_index_base_S6_,"axG",@progbits,_ZN9rocsparseL11copy_kernelILj256EiiEEvlPKT0_PT1_21rocsparse_index_base_S6_,comdat
.Lfunc_end74:
	.size	_ZN9rocsparseL11copy_kernelILj256EiiEEvlPKT0_PT1_21rocsparse_index_base_S6_, .Lfunc_end74-_ZN9rocsparseL11copy_kernelILj256EiiEEvlPKT0_PT1_21rocsparse_index_base_S6_
                                        ; -- End function
	.set _ZN9rocsparseL11copy_kernelILj256EiiEEvlPKT0_PT1_21rocsparse_index_base_S6_.num_vgpr, 4
	.set _ZN9rocsparseL11copy_kernelILj256EiiEEvlPKT0_PT1_21rocsparse_index_base_S6_.num_agpr, 0
	.set _ZN9rocsparseL11copy_kernelILj256EiiEEvlPKT0_PT1_21rocsparse_index_base_S6_.numbered_sgpr, 9
	.set _ZN9rocsparseL11copy_kernelILj256EiiEEvlPKT0_PT1_21rocsparse_index_base_S6_.num_named_barrier, 0
	.set _ZN9rocsparseL11copy_kernelILj256EiiEEvlPKT0_PT1_21rocsparse_index_base_S6_.private_seg_size, 0
	.set _ZN9rocsparseL11copy_kernelILj256EiiEEvlPKT0_PT1_21rocsparse_index_base_S6_.uses_vcc, 0
	.set _ZN9rocsparseL11copy_kernelILj256EiiEEvlPKT0_PT1_21rocsparse_index_base_S6_.uses_flat_scratch, 0
	.set _ZN9rocsparseL11copy_kernelILj256EiiEEvlPKT0_PT1_21rocsparse_index_base_S6_.has_dyn_sized_stack, 0
	.set _ZN9rocsparseL11copy_kernelILj256EiiEEvlPKT0_PT1_21rocsparse_index_base_S6_.has_recursion, 0
	.set _ZN9rocsparseL11copy_kernelILj256EiiEEvlPKT0_PT1_21rocsparse_index_base_S6_.has_indirect_call, 0
	.section	.AMDGPU.csdata,"",@progbits
; Kernel info:
; codeLenInByte = 148
; TotalNumSgprs: 9
; NumVgprs: 4
; ScratchSize: 0
; MemoryBound: 0
; FloatMode: 240
; IeeeMode: 1
; LDSByteSize: 0 bytes/workgroup (compile time only)
; SGPRBlocks: 0
; VGPRBlocks: 0
; NumSGPRsForWavesPerEU: 9
; NumVGPRsForWavesPerEU: 4
; NamedBarCnt: 0
; Occupancy: 16
; WaveLimiterHint : 0
; COMPUTE_PGM_RSRC2:SCRATCH_EN: 0
; COMPUTE_PGM_RSRC2:USER_SGPR: 2
; COMPUTE_PGM_RSRC2:TRAP_HANDLER: 0
; COMPUTE_PGM_RSRC2:TGID_X_EN: 1
; COMPUTE_PGM_RSRC2:TGID_Y_EN: 0
; COMPUTE_PGM_RSRC2:TGID_Z_EN: 0
; COMPUTE_PGM_RSRC2:TIDIG_COMP_CNT: 0
	.section	.text._ZN9rocsparseL11copy_kernelILj256EilEEvlPKT0_PT1_21rocsparse_index_base_S6_,"axG",@progbits,_ZN9rocsparseL11copy_kernelILj256EilEEvlPKT0_PT1_21rocsparse_index_base_S6_,comdat
	.globl	_ZN9rocsparseL11copy_kernelILj256EilEEvlPKT0_PT1_21rocsparse_index_base_S6_ ; -- Begin function _ZN9rocsparseL11copy_kernelILj256EilEEvlPKT0_PT1_21rocsparse_index_base_S6_
	.p2align	8
	.type	_ZN9rocsparseL11copy_kernelILj256EilEEvlPKT0_PT1_21rocsparse_index_base_S6_,@function
_ZN9rocsparseL11copy_kernelILj256EilEEvlPKT0_PT1_21rocsparse_index_base_S6_: ; @_ZN9rocsparseL11copy_kernelILj256EilEEvlPKT0_PT1_21rocsparse_index_base_S6_
; %bb.0:
	s_load_b128 s[4:7], s[0:1], 0x0
	s_bfe_u32 s2, ttmp6, 0x4000c
	s_and_b32 s3, ttmp6, 15
	s_add_co_i32 s2, s2, 1
	s_getreg_b32 s8, hwreg(HW_REG_IB_STS2, 6, 4)
	s_mul_i32 s2, ttmp9, s2
	v_mov_b32_e32 v1, 0
	s_add_co_i32 s3, s3, s2
	s_cmp_eq_u32 s8, 0
	s_cselect_b32 s2, ttmp9, s3
	s_delay_alu instid0(SALU_CYCLE_1) | instskip(SKIP_2) | instid1(VALU_DEP_1)
	v_lshl_or_b32 v0, s2, 8, v0
	s_mov_b32 s2, exec_lo
	s_wait_kmcnt 0x0
	v_cmpx_gt_i64_e64 s[4:5], v[0:1]
	s_cbranch_execz .LBB75_2
; %bb.1:
	v_lshl_add_u64 v[2:3], v[0:1], 2, s[6:7]
	s_load_b128 s[0:3], s[0:1], 0x10
	global_load_b32 v2, v[2:3], off
	s_wait_kmcnt 0x0
	s_sub_co_i32 s2, s3, s2
	v_lshl_add_u64 v[0:1], v[0:1], 3, s[0:1]
	s_wait_loadcnt 0x0
	v_add_nc_u32_e32 v2, s2, v2
	s_delay_alu instid0(VALU_DEP_1)
	v_ashrrev_i32_e32 v3, 31, v2
	global_store_b64 v[0:1], v[2:3], off
.LBB75_2:
	s_endpgm
	.section	.rodata,"a",@progbits
	.p2align	6, 0x0
	.amdhsa_kernel _ZN9rocsparseL11copy_kernelILj256EilEEvlPKT0_PT1_21rocsparse_index_base_S6_
		.amdhsa_group_segment_fixed_size 0
		.amdhsa_private_segment_fixed_size 0
		.amdhsa_kernarg_size 32
		.amdhsa_user_sgpr_count 2
		.amdhsa_user_sgpr_dispatch_ptr 0
		.amdhsa_user_sgpr_queue_ptr 0
		.amdhsa_user_sgpr_kernarg_segment_ptr 1
		.amdhsa_user_sgpr_dispatch_id 0
		.amdhsa_user_sgpr_kernarg_preload_length 0
		.amdhsa_user_sgpr_kernarg_preload_offset 0
		.amdhsa_user_sgpr_private_segment_size 0
		.amdhsa_wavefront_size32 1
		.amdhsa_uses_dynamic_stack 0
		.amdhsa_enable_private_segment 0
		.amdhsa_system_sgpr_workgroup_id_x 1
		.amdhsa_system_sgpr_workgroup_id_y 0
		.amdhsa_system_sgpr_workgroup_id_z 0
		.amdhsa_system_sgpr_workgroup_info 0
		.amdhsa_system_vgpr_workitem_id 0
		.amdhsa_next_free_vgpr 4
		.amdhsa_next_free_sgpr 9
		.amdhsa_named_barrier_count 0
		.amdhsa_reserve_vcc 0
		.amdhsa_float_round_mode_32 0
		.amdhsa_float_round_mode_16_64 0
		.amdhsa_float_denorm_mode_32 3
		.amdhsa_float_denorm_mode_16_64 3
		.amdhsa_fp16_overflow 0
		.amdhsa_memory_ordered 1
		.amdhsa_forward_progress 1
		.amdhsa_inst_pref_size 2
		.amdhsa_round_robin_scheduling 0
		.amdhsa_exception_fp_ieee_invalid_op 0
		.amdhsa_exception_fp_denorm_src 0
		.amdhsa_exception_fp_ieee_div_zero 0
		.amdhsa_exception_fp_ieee_overflow 0
		.amdhsa_exception_fp_ieee_underflow 0
		.amdhsa_exception_fp_ieee_inexact 0
		.amdhsa_exception_int_div_zero 0
	.end_amdhsa_kernel
	.section	.text._ZN9rocsparseL11copy_kernelILj256EilEEvlPKT0_PT1_21rocsparse_index_base_S6_,"axG",@progbits,_ZN9rocsparseL11copy_kernelILj256EilEEvlPKT0_PT1_21rocsparse_index_base_S6_,comdat
.Lfunc_end75:
	.size	_ZN9rocsparseL11copy_kernelILj256EilEEvlPKT0_PT1_21rocsparse_index_base_S6_, .Lfunc_end75-_ZN9rocsparseL11copy_kernelILj256EilEEvlPKT0_PT1_21rocsparse_index_base_S6_
                                        ; -- End function
	.set _ZN9rocsparseL11copy_kernelILj256EilEEvlPKT0_PT1_21rocsparse_index_base_S6_.num_vgpr, 4
	.set _ZN9rocsparseL11copy_kernelILj256EilEEvlPKT0_PT1_21rocsparse_index_base_S6_.num_agpr, 0
	.set _ZN9rocsparseL11copy_kernelILj256EilEEvlPKT0_PT1_21rocsparse_index_base_S6_.numbered_sgpr, 9
	.set _ZN9rocsparseL11copy_kernelILj256EilEEvlPKT0_PT1_21rocsparse_index_base_S6_.num_named_barrier, 0
	.set _ZN9rocsparseL11copy_kernelILj256EilEEvlPKT0_PT1_21rocsparse_index_base_S6_.private_seg_size, 0
	.set _ZN9rocsparseL11copy_kernelILj256EilEEvlPKT0_PT1_21rocsparse_index_base_S6_.uses_vcc, 0
	.set _ZN9rocsparseL11copy_kernelILj256EilEEvlPKT0_PT1_21rocsparse_index_base_S6_.uses_flat_scratch, 0
	.set _ZN9rocsparseL11copy_kernelILj256EilEEvlPKT0_PT1_21rocsparse_index_base_S6_.has_dyn_sized_stack, 0
	.set _ZN9rocsparseL11copy_kernelILj256EilEEvlPKT0_PT1_21rocsparse_index_base_S6_.has_recursion, 0
	.set _ZN9rocsparseL11copy_kernelILj256EilEEvlPKT0_PT1_21rocsparse_index_base_S6_.has_indirect_call, 0
	.section	.AMDGPU.csdata,"",@progbits
; Kernel info:
; codeLenInByte = 156
; TotalNumSgprs: 9
; NumVgprs: 4
; ScratchSize: 0
; MemoryBound: 0
; FloatMode: 240
; IeeeMode: 1
; LDSByteSize: 0 bytes/workgroup (compile time only)
; SGPRBlocks: 0
; VGPRBlocks: 0
; NumSGPRsForWavesPerEU: 9
; NumVGPRsForWavesPerEU: 4
; NamedBarCnt: 0
; Occupancy: 16
; WaveLimiterHint : 0
; COMPUTE_PGM_RSRC2:SCRATCH_EN: 0
; COMPUTE_PGM_RSRC2:USER_SGPR: 2
; COMPUTE_PGM_RSRC2:TRAP_HANDLER: 0
; COMPUTE_PGM_RSRC2:TGID_X_EN: 1
; COMPUTE_PGM_RSRC2:TGID_Y_EN: 0
; COMPUTE_PGM_RSRC2:TGID_Z_EN: 0
; COMPUTE_PGM_RSRC2:TIDIG_COMP_CNT: 0
	.section	.text._ZN9rocsparseL11copy_kernelILj256EliEEvlPKT0_PT1_21rocsparse_index_base_S6_,"axG",@progbits,_ZN9rocsparseL11copy_kernelILj256EliEEvlPKT0_PT1_21rocsparse_index_base_S6_,comdat
	.globl	_ZN9rocsparseL11copy_kernelILj256EliEEvlPKT0_PT1_21rocsparse_index_base_S6_ ; -- Begin function _ZN9rocsparseL11copy_kernelILj256EliEEvlPKT0_PT1_21rocsparse_index_base_S6_
	.p2align	8
	.type	_ZN9rocsparseL11copy_kernelILj256EliEEvlPKT0_PT1_21rocsparse_index_base_S6_,@function
_ZN9rocsparseL11copy_kernelILj256EliEEvlPKT0_PT1_21rocsparse_index_base_S6_: ; @_ZN9rocsparseL11copy_kernelILj256EliEEvlPKT0_PT1_21rocsparse_index_base_S6_
; %bb.0:
	s_load_b128 s[4:7], s[0:1], 0x0
	s_bfe_u32 s2, ttmp6, 0x4000c
	s_and_b32 s3, ttmp6, 15
	s_add_co_i32 s2, s2, 1
	s_getreg_b32 s8, hwreg(HW_REG_IB_STS2, 6, 4)
	s_mul_i32 s2, ttmp9, s2
	v_mov_b32_e32 v1, 0
	s_add_co_i32 s3, s3, s2
	s_cmp_eq_u32 s8, 0
	s_cselect_b32 s2, ttmp9, s3
	s_delay_alu instid0(SALU_CYCLE_1) | instskip(SKIP_2) | instid1(VALU_DEP_1)
	v_lshl_or_b32 v0, s2, 8, v0
	s_mov_b32 s2, exec_lo
	s_wait_kmcnt 0x0
	v_cmpx_gt_i64_e64 s[4:5], v[0:1]
	s_cbranch_execz .LBB76_2
; %bb.1:
	v_lshl_add_u64 v[2:3], v[0:1], 3, s[6:7]
	s_load_b128 s[0:3], s[0:1], 0x10
	global_load_b32 v2, v[2:3], off
	s_wait_kmcnt 0x0
	s_sub_co_i32 s2, s3, s2
	v_lshl_add_u64 v[0:1], v[0:1], 2, s[0:1]
	s_wait_loadcnt 0x0
	v_add_nc_u32_e32 v2, s2, v2
	global_store_b32 v[0:1], v2, off
.LBB76_2:
	s_endpgm
	.section	.rodata,"a",@progbits
	.p2align	6, 0x0
	.amdhsa_kernel _ZN9rocsparseL11copy_kernelILj256EliEEvlPKT0_PT1_21rocsparse_index_base_S6_
		.amdhsa_group_segment_fixed_size 0
		.amdhsa_private_segment_fixed_size 0
		.amdhsa_kernarg_size 32
		.amdhsa_user_sgpr_count 2
		.amdhsa_user_sgpr_dispatch_ptr 0
		.amdhsa_user_sgpr_queue_ptr 0
		.amdhsa_user_sgpr_kernarg_segment_ptr 1
		.amdhsa_user_sgpr_dispatch_id 0
		.amdhsa_user_sgpr_kernarg_preload_length 0
		.amdhsa_user_sgpr_kernarg_preload_offset 0
		.amdhsa_user_sgpr_private_segment_size 0
		.amdhsa_wavefront_size32 1
		.amdhsa_uses_dynamic_stack 0
		.amdhsa_enable_private_segment 0
		.amdhsa_system_sgpr_workgroup_id_x 1
		.amdhsa_system_sgpr_workgroup_id_y 0
		.amdhsa_system_sgpr_workgroup_id_z 0
		.amdhsa_system_sgpr_workgroup_info 0
		.amdhsa_system_vgpr_workitem_id 0
		.amdhsa_next_free_vgpr 4
		.amdhsa_next_free_sgpr 9
		.amdhsa_named_barrier_count 0
		.amdhsa_reserve_vcc 0
		.amdhsa_float_round_mode_32 0
		.amdhsa_float_round_mode_16_64 0
		.amdhsa_float_denorm_mode_32 3
		.amdhsa_float_denorm_mode_16_64 3
		.amdhsa_fp16_overflow 0
		.amdhsa_memory_ordered 1
		.amdhsa_forward_progress 1
		.amdhsa_inst_pref_size 2
		.amdhsa_round_robin_scheduling 0
		.amdhsa_exception_fp_ieee_invalid_op 0
		.amdhsa_exception_fp_denorm_src 0
		.amdhsa_exception_fp_ieee_div_zero 0
		.amdhsa_exception_fp_ieee_overflow 0
		.amdhsa_exception_fp_ieee_underflow 0
		.amdhsa_exception_fp_ieee_inexact 0
		.amdhsa_exception_int_div_zero 0
	.end_amdhsa_kernel
	.section	.text._ZN9rocsparseL11copy_kernelILj256EliEEvlPKT0_PT1_21rocsparse_index_base_S6_,"axG",@progbits,_ZN9rocsparseL11copy_kernelILj256EliEEvlPKT0_PT1_21rocsparse_index_base_S6_,comdat
.Lfunc_end76:
	.size	_ZN9rocsparseL11copy_kernelILj256EliEEvlPKT0_PT1_21rocsparse_index_base_S6_, .Lfunc_end76-_ZN9rocsparseL11copy_kernelILj256EliEEvlPKT0_PT1_21rocsparse_index_base_S6_
                                        ; -- End function
	.set _ZN9rocsparseL11copy_kernelILj256EliEEvlPKT0_PT1_21rocsparse_index_base_S6_.num_vgpr, 4
	.set _ZN9rocsparseL11copy_kernelILj256EliEEvlPKT0_PT1_21rocsparse_index_base_S6_.num_agpr, 0
	.set _ZN9rocsparseL11copy_kernelILj256EliEEvlPKT0_PT1_21rocsparse_index_base_S6_.numbered_sgpr, 9
	.set _ZN9rocsparseL11copy_kernelILj256EliEEvlPKT0_PT1_21rocsparse_index_base_S6_.num_named_barrier, 0
	.set _ZN9rocsparseL11copy_kernelILj256EliEEvlPKT0_PT1_21rocsparse_index_base_S6_.private_seg_size, 0
	.set _ZN9rocsparseL11copy_kernelILj256EliEEvlPKT0_PT1_21rocsparse_index_base_S6_.uses_vcc, 0
	.set _ZN9rocsparseL11copy_kernelILj256EliEEvlPKT0_PT1_21rocsparse_index_base_S6_.uses_flat_scratch, 0
	.set _ZN9rocsparseL11copy_kernelILj256EliEEvlPKT0_PT1_21rocsparse_index_base_S6_.has_dyn_sized_stack, 0
	.set _ZN9rocsparseL11copy_kernelILj256EliEEvlPKT0_PT1_21rocsparse_index_base_S6_.has_recursion, 0
	.set _ZN9rocsparseL11copy_kernelILj256EliEEvlPKT0_PT1_21rocsparse_index_base_S6_.has_indirect_call, 0
	.section	.AMDGPU.csdata,"",@progbits
; Kernel info:
; codeLenInByte = 148
; TotalNumSgprs: 9
; NumVgprs: 4
; ScratchSize: 0
; MemoryBound: 0
; FloatMode: 240
; IeeeMode: 1
; LDSByteSize: 0 bytes/workgroup (compile time only)
; SGPRBlocks: 0
; VGPRBlocks: 0
; NumSGPRsForWavesPerEU: 9
; NumVGPRsForWavesPerEU: 4
; NamedBarCnt: 0
; Occupancy: 16
; WaveLimiterHint : 0
; COMPUTE_PGM_RSRC2:SCRATCH_EN: 0
; COMPUTE_PGM_RSRC2:USER_SGPR: 2
; COMPUTE_PGM_RSRC2:TRAP_HANDLER: 0
; COMPUTE_PGM_RSRC2:TGID_X_EN: 1
; COMPUTE_PGM_RSRC2:TGID_Y_EN: 0
; COMPUTE_PGM_RSRC2:TGID_Z_EN: 0
; COMPUTE_PGM_RSRC2:TIDIG_COMP_CNT: 0
	.section	.text._ZN9rocsparseL11copy_kernelILj256EllEEvlPKT0_PT1_21rocsparse_index_base_S6_,"axG",@progbits,_ZN9rocsparseL11copy_kernelILj256EllEEvlPKT0_PT1_21rocsparse_index_base_S6_,comdat
	.globl	_ZN9rocsparseL11copy_kernelILj256EllEEvlPKT0_PT1_21rocsparse_index_base_S6_ ; -- Begin function _ZN9rocsparseL11copy_kernelILj256EllEEvlPKT0_PT1_21rocsparse_index_base_S6_
	.p2align	8
	.type	_ZN9rocsparseL11copy_kernelILj256EllEEvlPKT0_PT1_21rocsparse_index_base_S6_,@function
_ZN9rocsparseL11copy_kernelILj256EllEEvlPKT0_PT1_21rocsparse_index_base_S6_: ; @_ZN9rocsparseL11copy_kernelILj256EllEEvlPKT0_PT1_21rocsparse_index_base_S6_
; %bb.0:
	s_load_b128 s[4:7], s[0:1], 0x0
	s_bfe_u32 s2, ttmp6, 0x4000c
	s_and_b32 s3, ttmp6, 15
	s_add_co_i32 s2, s2, 1
	s_getreg_b32 s8, hwreg(HW_REG_IB_STS2, 6, 4)
	s_mul_i32 s2, ttmp9, s2
	v_mov_b32_e32 v1, 0
	s_add_co_i32 s3, s3, s2
	s_cmp_eq_u32 s8, 0
	s_cselect_b32 s2, ttmp9, s3
	s_mov_b32 s3, 0
	v_lshl_or_b32 v0, s2, 8, v0
	s_mov_b32 s2, exec_lo
	s_wait_kmcnt 0x0
	s_delay_alu instid0(VALU_DEP_1)
	v_cmpx_gt_i64_e64 s[4:5], v[0:1]
	s_cbranch_execz .LBB77_2
; %bb.1:
	v_lshlrev_b64_e32 v[0:1], 3, v[0:1]
	s_delay_alu instid0(VALU_DEP_1)
	v_add_nc_u64_e32 v[2:3], s[6:7], v[0:1]
	s_load_b128 s[4:7], s[0:1], 0x10
	global_load_b64 v[2:3], v[2:3], off
	s_wait_kmcnt 0x0
	s_mov_b32 s2, s7
	s_mov_b32 s7, s3
	v_add_nc_u64_e32 v[0:1], s[4:5], v[0:1]
	s_sub_nc_u64 s[0:1], s[2:3], s[6:7]
	s_wait_loadcnt 0x0
	v_add_nc_u64_e32 v[2:3], s[0:1], v[2:3]
	global_store_b64 v[0:1], v[2:3], off
.LBB77_2:
	s_endpgm
	.section	.rodata,"a",@progbits
	.p2align	6, 0x0
	.amdhsa_kernel _ZN9rocsparseL11copy_kernelILj256EllEEvlPKT0_PT1_21rocsparse_index_base_S6_
		.amdhsa_group_segment_fixed_size 0
		.amdhsa_private_segment_fixed_size 0
		.amdhsa_kernarg_size 32
		.amdhsa_user_sgpr_count 2
		.amdhsa_user_sgpr_dispatch_ptr 0
		.amdhsa_user_sgpr_queue_ptr 0
		.amdhsa_user_sgpr_kernarg_segment_ptr 1
		.amdhsa_user_sgpr_dispatch_id 0
		.amdhsa_user_sgpr_kernarg_preload_length 0
		.amdhsa_user_sgpr_kernarg_preload_offset 0
		.amdhsa_user_sgpr_private_segment_size 0
		.amdhsa_wavefront_size32 1
		.amdhsa_uses_dynamic_stack 0
		.amdhsa_enable_private_segment 0
		.amdhsa_system_sgpr_workgroup_id_x 1
		.amdhsa_system_sgpr_workgroup_id_y 0
		.amdhsa_system_sgpr_workgroup_id_z 0
		.amdhsa_system_sgpr_workgroup_info 0
		.amdhsa_system_vgpr_workitem_id 0
		.amdhsa_next_free_vgpr 4
		.amdhsa_next_free_sgpr 9
		.amdhsa_named_barrier_count 0
		.amdhsa_reserve_vcc 0
		.amdhsa_float_round_mode_32 0
		.amdhsa_float_round_mode_16_64 0
		.amdhsa_float_denorm_mode_32 3
		.amdhsa_float_denorm_mode_16_64 3
		.amdhsa_fp16_overflow 0
		.amdhsa_memory_ordered 1
		.amdhsa_forward_progress 1
		.amdhsa_inst_pref_size 2
		.amdhsa_round_robin_scheduling 0
		.amdhsa_exception_fp_ieee_invalid_op 0
		.amdhsa_exception_fp_denorm_src 0
		.amdhsa_exception_fp_ieee_div_zero 0
		.amdhsa_exception_fp_ieee_overflow 0
		.amdhsa_exception_fp_ieee_underflow 0
		.amdhsa_exception_fp_ieee_inexact 0
		.amdhsa_exception_int_div_zero 0
	.end_amdhsa_kernel
	.section	.text._ZN9rocsparseL11copy_kernelILj256EllEEvlPKT0_PT1_21rocsparse_index_base_S6_,"axG",@progbits,_ZN9rocsparseL11copy_kernelILj256EllEEvlPKT0_PT1_21rocsparse_index_base_S6_,comdat
.Lfunc_end77:
	.size	_ZN9rocsparseL11copy_kernelILj256EllEEvlPKT0_PT1_21rocsparse_index_base_S6_, .Lfunc_end77-_ZN9rocsparseL11copy_kernelILj256EllEEvlPKT0_PT1_21rocsparse_index_base_S6_
                                        ; -- End function
	.set _ZN9rocsparseL11copy_kernelILj256EllEEvlPKT0_PT1_21rocsparse_index_base_S6_.num_vgpr, 4
	.set _ZN9rocsparseL11copy_kernelILj256EllEEvlPKT0_PT1_21rocsparse_index_base_S6_.num_agpr, 0
	.set _ZN9rocsparseL11copy_kernelILj256EllEEvlPKT0_PT1_21rocsparse_index_base_S6_.numbered_sgpr, 9
	.set _ZN9rocsparseL11copy_kernelILj256EllEEvlPKT0_PT1_21rocsparse_index_base_S6_.num_named_barrier, 0
	.set _ZN9rocsparseL11copy_kernelILj256EllEEvlPKT0_PT1_21rocsparse_index_base_S6_.private_seg_size, 0
	.set _ZN9rocsparseL11copy_kernelILj256EllEEvlPKT0_PT1_21rocsparse_index_base_S6_.uses_vcc, 0
	.set _ZN9rocsparseL11copy_kernelILj256EllEEvlPKT0_PT1_21rocsparse_index_base_S6_.uses_flat_scratch, 0
	.set _ZN9rocsparseL11copy_kernelILj256EllEEvlPKT0_PT1_21rocsparse_index_base_S6_.has_dyn_sized_stack, 0
	.set _ZN9rocsparseL11copy_kernelILj256EllEEvlPKT0_PT1_21rocsparse_index_base_S6_.has_recursion, 0
	.set _ZN9rocsparseL11copy_kernelILj256EllEEvlPKT0_PT1_21rocsparse_index_base_S6_.has_indirect_call, 0
	.section	.AMDGPU.csdata,"",@progbits
; Kernel info:
; codeLenInByte = 160
; TotalNumSgprs: 9
; NumVgprs: 4
; ScratchSize: 0
; MemoryBound: 0
; FloatMode: 240
; IeeeMode: 1
; LDSByteSize: 0 bytes/workgroup (compile time only)
; SGPRBlocks: 0
; VGPRBlocks: 0
; NumSGPRsForWavesPerEU: 9
; NumVGPRsForWavesPerEU: 4
; NamedBarCnt: 0
; Occupancy: 16
; WaveLimiterHint : 0
; COMPUTE_PGM_RSRC2:SCRATCH_EN: 0
; COMPUTE_PGM_RSRC2:USER_SGPR: 2
; COMPUTE_PGM_RSRC2:TRAP_HANDLER: 0
; COMPUTE_PGM_RSRC2:TGID_X_EN: 1
; COMPUTE_PGM_RSRC2:TGID_Y_EN: 0
; COMPUTE_PGM_RSRC2:TGID_Z_EN: 0
; COMPUTE_PGM_RSRC2:TIDIG_COMP_CNT: 0
	.section	.text._ZN9rocsparseL21copy_and_scale_kernelILj256EfEEvlPKT0_PS1_NS_24const_host_device_scalarIS1_EEb,"axG",@progbits,_ZN9rocsparseL21copy_and_scale_kernelILj256EfEEvlPKT0_PS1_NS_24const_host_device_scalarIS1_EEb,comdat
	.globl	_ZN9rocsparseL21copy_and_scale_kernelILj256EfEEvlPKT0_PS1_NS_24const_host_device_scalarIS1_EEb ; -- Begin function _ZN9rocsparseL21copy_and_scale_kernelILj256EfEEvlPKT0_PS1_NS_24const_host_device_scalarIS1_EEb
	.p2align	8
	.type	_ZN9rocsparseL21copy_and_scale_kernelILj256EfEEvlPKT0_PS1_NS_24const_host_device_scalarIS1_EEb,@function
_ZN9rocsparseL21copy_and_scale_kernelILj256EfEEvlPKT0_PS1_NS_24const_host_device_scalarIS1_EEb: ; @_ZN9rocsparseL21copy_and_scale_kernelILj256EfEEvlPKT0_PS1_NS_24const_host_device_scalarIS1_EEb
; %bb.0:
	s_clause 0x1
	s_load_b32 s2, s[0:1], 0x20
	s_load_b256 s[4:11], s[0:1], 0x0
	s_wait_kmcnt 0x0
	s_bitcmp1_b32 s2, 0
	s_cselect_b32 s0, -1, 0
	s_delay_alu instid0(SALU_CYCLE_1)
	s_and_b32 vcc_lo, exec_lo, s0
	s_cbranch_vccnz .LBB78_2
; %bb.1:
	s_load_b32 s10, s[10:11], 0x0
.LBB78_2:
	s_bfe_u32 s0, ttmp6, 0x4000c
	s_and_b32 s1, ttmp6, 15
	s_add_co_i32 s0, s0, 1
	s_getreg_b32 s2, hwreg(HW_REG_IB_STS2, 6, 4)
	s_mul_i32 s0, ttmp9, s0
	v_mov_b32_e32 v1, 0
	s_add_co_i32 s1, s1, s0
	s_cmp_eq_u32 s2, 0
	s_cselect_b32 s0, ttmp9, s1
	s_delay_alu instid0(SALU_CYCLE_1) | instskip(SKIP_1) | instid1(VALU_DEP_1)
	v_lshl_or_b32 v0, s0, 8, v0
	s_mov_b32 s0, exec_lo
	v_cmpx_gt_i64_e64 s[4:5], v[0:1]
	s_cbranch_execz .LBB78_7
; %bb.3:
	s_wait_kmcnt 0x0
	s_cmp_eq_f32 s10, 0
	s_cbranch_scc1 .LBB78_5
; %bb.4:
	v_lshl_add_u64 v[2:3], v[0:1], 2, s[6:7]
	global_load_b32 v2, v[2:3], off
	s_wait_loadcnt 0x0
	v_mul_f32_e32 v2, s10, v2
	s_branch .LBB78_6
.LBB78_5:
	v_mov_b32_e32 v2, 0
.LBB78_6:
	v_lshl_add_u64 v[0:1], v[0:1], 2, s[8:9]
	global_store_b32 v[0:1], v2, off
.LBB78_7:
	s_endpgm
	.section	.rodata,"a",@progbits
	.p2align	6, 0x0
	.amdhsa_kernel _ZN9rocsparseL21copy_and_scale_kernelILj256EfEEvlPKT0_PS1_NS_24const_host_device_scalarIS1_EEb
		.amdhsa_group_segment_fixed_size 0
		.amdhsa_private_segment_fixed_size 0
		.amdhsa_kernarg_size 36
		.amdhsa_user_sgpr_count 2
		.amdhsa_user_sgpr_dispatch_ptr 0
		.amdhsa_user_sgpr_queue_ptr 0
		.amdhsa_user_sgpr_kernarg_segment_ptr 1
		.amdhsa_user_sgpr_dispatch_id 0
		.amdhsa_user_sgpr_kernarg_preload_length 0
		.amdhsa_user_sgpr_kernarg_preload_offset 0
		.amdhsa_user_sgpr_private_segment_size 0
		.amdhsa_wavefront_size32 1
		.amdhsa_uses_dynamic_stack 0
		.amdhsa_enable_private_segment 0
		.amdhsa_system_sgpr_workgroup_id_x 1
		.amdhsa_system_sgpr_workgroup_id_y 0
		.amdhsa_system_sgpr_workgroup_id_z 0
		.amdhsa_system_sgpr_workgroup_info 0
		.amdhsa_system_vgpr_workitem_id 0
		.amdhsa_next_free_vgpr 4
		.amdhsa_next_free_sgpr 12
		.amdhsa_named_barrier_count 0
		.amdhsa_reserve_vcc 1
		.amdhsa_float_round_mode_32 0
		.amdhsa_float_round_mode_16_64 0
		.amdhsa_float_denorm_mode_32 3
		.amdhsa_float_denorm_mode_16_64 3
		.amdhsa_fp16_overflow 0
		.amdhsa_memory_ordered 1
		.amdhsa_forward_progress 1
		.amdhsa_inst_pref_size 2
		.amdhsa_round_robin_scheduling 0
		.amdhsa_exception_fp_ieee_invalid_op 0
		.amdhsa_exception_fp_denorm_src 0
		.amdhsa_exception_fp_ieee_div_zero 0
		.amdhsa_exception_fp_ieee_overflow 0
		.amdhsa_exception_fp_ieee_underflow 0
		.amdhsa_exception_fp_ieee_inexact 0
		.amdhsa_exception_int_div_zero 0
	.end_amdhsa_kernel
	.section	.text._ZN9rocsparseL21copy_and_scale_kernelILj256EfEEvlPKT0_PS1_NS_24const_host_device_scalarIS1_EEb,"axG",@progbits,_ZN9rocsparseL21copy_and_scale_kernelILj256EfEEvlPKT0_PS1_NS_24const_host_device_scalarIS1_EEb,comdat
.Lfunc_end78:
	.size	_ZN9rocsparseL21copy_and_scale_kernelILj256EfEEvlPKT0_PS1_NS_24const_host_device_scalarIS1_EEb, .Lfunc_end78-_ZN9rocsparseL21copy_and_scale_kernelILj256EfEEvlPKT0_PS1_NS_24const_host_device_scalarIS1_EEb
                                        ; -- End function
	.set _ZN9rocsparseL21copy_and_scale_kernelILj256EfEEvlPKT0_PS1_NS_24const_host_device_scalarIS1_EEb.num_vgpr, 4
	.set _ZN9rocsparseL21copy_and_scale_kernelILj256EfEEvlPKT0_PS1_NS_24const_host_device_scalarIS1_EEb.num_agpr, 0
	.set _ZN9rocsparseL21copy_and_scale_kernelILj256EfEEvlPKT0_PS1_NS_24const_host_device_scalarIS1_EEb.numbered_sgpr, 12
	.set _ZN9rocsparseL21copy_and_scale_kernelILj256EfEEvlPKT0_PS1_NS_24const_host_device_scalarIS1_EEb.num_named_barrier, 0
	.set _ZN9rocsparseL21copy_and_scale_kernelILj256EfEEvlPKT0_PS1_NS_24const_host_device_scalarIS1_EEb.private_seg_size, 0
	.set _ZN9rocsparseL21copy_and_scale_kernelILj256EfEEvlPKT0_PS1_NS_24const_host_device_scalarIS1_EEb.uses_vcc, 1
	.set _ZN9rocsparseL21copy_and_scale_kernelILj256EfEEvlPKT0_PS1_NS_24const_host_device_scalarIS1_EEb.uses_flat_scratch, 0
	.set _ZN9rocsparseL21copy_and_scale_kernelILj256EfEEvlPKT0_PS1_NS_24const_host_device_scalarIS1_EEb.has_dyn_sized_stack, 0
	.set _ZN9rocsparseL21copy_and_scale_kernelILj256EfEEvlPKT0_PS1_NS_24const_host_device_scalarIS1_EEb.has_recursion, 0
	.set _ZN9rocsparseL21copy_and_scale_kernelILj256EfEEvlPKT0_PS1_NS_24const_host_device_scalarIS1_EEb.has_indirect_call, 0
	.section	.AMDGPU.csdata,"",@progbits
; Kernel info:
; codeLenInByte = 192
; TotalNumSgprs: 14
; NumVgprs: 4
; ScratchSize: 0
; MemoryBound: 0
; FloatMode: 240
; IeeeMode: 1
; LDSByteSize: 0 bytes/workgroup (compile time only)
; SGPRBlocks: 0
; VGPRBlocks: 0
; NumSGPRsForWavesPerEU: 14
; NumVGPRsForWavesPerEU: 4
; NamedBarCnt: 0
; Occupancy: 16
; WaveLimiterHint : 0
; COMPUTE_PGM_RSRC2:SCRATCH_EN: 0
; COMPUTE_PGM_RSRC2:USER_SGPR: 2
; COMPUTE_PGM_RSRC2:TRAP_HANDLER: 0
; COMPUTE_PGM_RSRC2:TGID_X_EN: 1
; COMPUTE_PGM_RSRC2:TGID_Y_EN: 0
; COMPUTE_PGM_RSRC2:TGID_Z_EN: 0
; COMPUTE_PGM_RSRC2:TIDIG_COMP_CNT: 0
	.section	.text._ZN9rocsparseL21copy_and_scale_kernelILj256EdEEvlPKT0_PS1_NS_24const_host_device_scalarIS1_EEb,"axG",@progbits,_ZN9rocsparseL21copy_and_scale_kernelILj256EdEEvlPKT0_PS1_NS_24const_host_device_scalarIS1_EEb,comdat
	.globl	_ZN9rocsparseL21copy_and_scale_kernelILj256EdEEvlPKT0_PS1_NS_24const_host_device_scalarIS1_EEb ; -- Begin function _ZN9rocsparseL21copy_and_scale_kernelILj256EdEEvlPKT0_PS1_NS_24const_host_device_scalarIS1_EEb
	.p2align	8
	.type	_ZN9rocsparseL21copy_and_scale_kernelILj256EdEEvlPKT0_PS1_NS_24const_host_device_scalarIS1_EEb,@function
_ZN9rocsparseL21copy_and_scale_kernelILj256EdEEvlPKT0_PS1_NS_24const_host_device_scalarIS1_EEb: ; @_ZN9rocsparseL21copy_and_scale_kernelILj256EdEEvlPKT0_PS1_NS_24const_host_device_scalarIS1_EEb
; %bb.0:
	s_clause 0x1
	s_load_b32 s2, s[0:1], 0x20
	s_load_b256 s[4:11], s[0:1], 0x0
	s_wait_kmcnt 0x0
	s_bitcmp1_b32 s2, 0
	v_mov_b64_e32 v[2:3], s[10:11]
	s_cselect_b32 s0, -1, 0
	s_delay_alu instid0(SALU_CYCLE_1)
	s_and_b32 vcc_lo, exec_lo, s0
	s_cbranch_vccnz .LBB79_2
; %bb.1:
	v_mov_b32_e32 v1, 0
	flat_load_b64 v[2:3], v1, s[10:11]
.LBB79_2:
	s_bfe_u32 s0, ttmp6, 0x4000c
	s_and_b32 s1, ttmp6, 15
	s_add_co_i32 s0, s0, 1
	s_getreg_b32 s2, hwreg(HW_REG_IB_STS2, 6, 4)
	s_mul_i32 s0, ttmp9, s0
	s_wait_xcnt 0x0
	v_mov_b32_e32 v1, 0
	s_add_co_i32 s1, s1, s0
	s_cmp_eq_u32 s2, 0
	s_cselect_b32 s0, ttmp9, s1
	s_delay_alu instid0(SALU_CYCLE_1) | instskip(SKIP_1) | instid1(VALU_DEP_1)
	v_lshl_or_b32 v0, s0, 8, v0
	s_mov_b32 s0, exec_lo
	v_cmpx_gt_i64_e64 s[4:5], v[0:1]
	s_cbranch_execz .LBB79_6
; %bb.3:
	v_mov_b64_e32 v[4:5], 0
	s_mov_b32 s0, exec_lo
	s_wait_loadcnt_dscnt 0x0
	v_cmpx_neq_f64_e32 0, v[2:3]
	s_cbranch_execz .LBB79_5
; %bb.4:
	v_lshl_add_u64 v[4:5], v[0:1], 3, s[6:7]
	global_load_b64 v[4:5], v[4:5], off
	s_wait_loadcnt 0x0
	v_mul_f64_e32 v[4:5], v[2:3], v[4:5]
.LBB79_5:
	s_or_b32 exec_lo, exec_lo, s0
	v_lshl_add_u64 v[0:1], v[0:1], 3, s[8:9]
	global_store_b64 v[0:1], v[4:5], off
.LBB79_6:
	s_endpgm
	.section	.rodata,"a",@progbits
	.p2align	6, 0x0
	.amdhsa_kernel _ZN9rocsparseL21copy_and_scale_kernelILj256EdEEvlPKT0_PS1_NS_24const_host_device_scalarIS1_EEb
		.amdhsa_group_segment_fixed_size 0
		.amdhsa_private_segment_fixed_size 0
		.amdhsa_kernarg_size 36
		.amdhsa_user_sgpr_count 2
		.amdhsa_user_sgpr_dispatch_ptr 0
		.amdhsa_user_sgpr_queue_ptr 0
		.amdhsa_user_sgpr_kernarg_segment_ptr 1
		.amdhsa_user_sgpr_dispatch_id 0
		.amdhsa_user_sgpr_kernarg_preload_length 0
		.amdhsa_user_sgpr_kernarg_preload_offset 0
		.amdhsa_user_sgpr_private_segment_size 0
		.amdhsa_wavefront_size32 1
		.amdhsa_uses_dynamic_stack 0
		.amdhsa_enable_private_segment 0
		.amdhsa_system_sgpr_workgroup_id_x 1
		.amdhsa_system_sgpr_workgroup_id_y 0
		.amdhsa_system_sgpr_workgroup_id_z 0
		.amdhsa_system_sgpr_workgroup_info 0
		.amdhsa_system_vgpr_workitem_id 0
		.amdhsa_next_free_vgpr 6
		.amdhsa_next_free_sgpr 12
		.amdhsa_named_barrier_count 0
		.amdhsa_reserve_vcc 1
		.amdhsa_float_round_mode_32 0
		.amdhsa_float_round_mode_16_64 0
		.amdhsa_float_denorm_mode_32 3
		.amdhsa_float_denorm_mode_16_64 3
		.amdhsa_fp16_overflow 0
		.amdhsa_memory_ordered 1
		.amdhsa_forward_progress 1
		.amdhsa_inst_pref_size 2
		.amdhsa_round_robin_scheduling 0
		.amdhsa_exception_fp_ieee_invalid_op 0
		.amdhsa_exception_fp_denorm_src 0
		.amdhsa_exception_fp_ieee_div_zero 0
		.amdhsa_exception_fp_ieee_overflow 0
		.amdhsa_exception_fp_ieee_underflow 0
		.amdhsa_exception_fp_ieee_inexact 0
		.amdhsa_exception_int_div_zero 0
	.end_amdhsa_kernel
	.section	.text._ZN9rocsparseL21copy_and_scale_kernelILj256EdEEvlPKT0_PS1_NS_24const_host_device_scalarIS1_EEb,"axG",@progbits,_ZN9rocsparseL21copy_and_scale_kernelILj256EdEEvlPKT0_PS1_NS_24const_host_device_scalarIS1_EEb,comdat
.Lfunc_end79:
	.size	_ZN9rocsparseL21copy_and_scale_kernelILj256EdEEvlPKT0_PS1_NS_24const_host_device_scalarIS1_EEb, .Lfunc_end79-_ZN9rocsparseL21copy_and_scale_kernelILj256EdEEvlPKT0_PS1_NS_24const_host_device_scalarIS1_EEb
                                        ; -- End function
	.set _ZN9rocsparseL21copy_and_scale_kernelILj256EdEEvlPKT0_PS1_NS_24const_host_device_scalarIS1_EEb.num_vgpr, 6
	.set _ZN9rocsparseL21copy_and_scale_kernelILj256EdEEvlPKT0_PS1_NS_24const_host_device_scalarIS1_EEb.num_agpr, 0
	.set _ZN9rocsparseL21copy_and_scale_kernelILj256EdEEvlPKT0_PS1_NS_24const_host_device_scalarIS1_EEb.numbered_sgpr, 12
	.set _ZN9rocsparseL21copy_and_scale_kernelILj256EdEEvlPKT0_PS1_NS_24const_host_device_scalarIS1_EEb.num_named_barrier, 0
	.set _ZN9rocsparseL21copy_and_scale_kernelILj256EdEEvlPKT0_PS1_NS_24const_host_device_scalarIS1_EEb.private_seg_size, 0
	.set _ZN9rocsparseL21copy_and_scale_kernelILj256EdEEvlPKT0_PS1_NS_24const_host_device_scalarIS1_EEb.uses_vcc, 1
	.set _ZN9rocsparseL21copy_and_scale_kernelILj256EdEEvlPKT0_PS1_NS_24const_host_device_scalarIS1_EEb.uses_flat_scratch, 0
	.set _ZN9rocsparseL21copy_and_scale_kernelILj256EdEEvlPKT0_PS1_NS_24const_host_device_scalarIS1_EEb.has_dyn_sized_stack, 0
	.set _ZN9rocsparseL21copy_and_scale_kernelILj256EdEEvlPKT0_PS1_NS_24const_host_device_scalarIS1_EEb.has_recursion, 0
	.set _ZN9rocsparseL21copy_and_scale_kernelILj256EdEEvlPKT0_PS1_NS_24const_host_device_scalarIS1_EEb.has_indirect_call, 0
	.section	.AMDGPU.csdata,"",@progbits
; Kernel info:
; codeLenInByte = 212
; TotalNumSgprs: 14
; NumVgprs: 6
; ScratchSize: 0
; MemoryBound: 0
; FloatMode: 240
; IeeeMode: 1
; LDSByteSize: 0 bytes/workgroup (compile time only)
; SGPRBlocks: 0
; VGPRBlocks: 0
; NumSGPRsForWavesPerEU: 14
; NumVGPRsForWavesPerEU: 6
; NamedBarCnt: 0
; Occupancy: 16
; WaveLimiterHint : 0
; COMPUTE_PGM_RSRC2:SCRATCH_EN: 0
; COMPUTE_PGM_RSRC2:USER_SGPR: 2
; COMPUTE_PGM_RSRC2:TRAP_HANDLER: 0
; COMPUTE_PGM_RSRC2:TGID_X_EN: 1
; COMPUTE_PGM_RSRC2:TGID_Y_EN: 0
; COMPUTE_PGM_RSRC2:TGID_Z_EN: 0
; COMPUTE_PGM_RSRC2:TIDIG_COMP_CNT: 0
	.section	.text._ZN9rocsparseL21copy_and_scale_kernelILj256E21rocsparse_complex_numIfEEEvlPKT0_PS3_NS_24const_host_device_scalarIS3_EEb,"axG",@progbits,_ZN9rocsparseL21copy_and_scale_kernelILj256E21rocsparse_complex_numIfEEEvlPKT0_PS3_NS_24const_host_device_scalarIS3_EEb,comdat
	.globl	_ZN9rocsparseL21copy_and_scale_kernelILj256E21rocsparse_complex_numIfEEEvlPKT0_PS3_NS_24const_host_device_scalarIS3_EEb ; -- Begin function _ZN9rocsparseL21copy_and_scale_kernelILj256E21rocsparse_complex_numIfEEEvlPKT0_PS3_NS_24const_host_device_scalarIS3_EEb
	.p2align	8
	.type	_ZN9rocsparseL21copy_and_scale_kernelILj256E21rocsparse_complex_numIfEEEvlPKT0_PS3_NS_24const_host_device_scalarIS3_EEb,@function
_ZN9rocsparseL21copy_and_scale_kernelILj256E21rocsparse_complex_numIfEEEvlPKT0_PS3_NS_24const_host_device_scalarIS3_EEb: ; @_ZN9rocsparseL21copy_and_scale_kernelILj256E21rocsparse_complex_numIfEEEvlPKT0_PS3_NS_24const_host_device_scalarIS3_EEb
; %bb.0:
	s_clause 0x1
	s_load_b32 s2, s[0:1], 0x20
	s_load_b256 s[4:11], s[0:1], 0x0
	s_wait_kmcnt 0x0
	s_bitcmp1_b32 s2, 0
	s_cselect_b32 s0, -1, 0
	s_delay_alu instid0(SALU_CYCLE_1)
	s_xor_b32 s1, s0, -1
	s_and_b32 vcc_lo, exec_lo, s0
	s_mov_b32 s0, s10
	s_cbranch_vccnz .LBB80_2
; %bb.1:
	s_load_b32 s0, s[10:11], 0x0
.LBB80_2:
	s_and_not1_b32 vcc_lo, exec_lo, s1
	s_cbranch_vccnz .LBB80_4
; %bb.3:
	s_wait_xcnt 0x0
	s_load_b32 s11, s[10:11], 0x4
.LBB80_4:
	s_bfe_u32 s1, ttmp6, 0x4000c
	s_and_b32 s2, ttmp6, 15
	s_add_co_i32 s1, s1, 1
	s_getreg_b32 s3, hwreg(HW_REG_IB_STS2, 6, 4)
	s_mul_i32 s1, ttmp9, s1
	v_mov_b32_e32 v1, 0
	s_add_co_i32 s2, s2, s1
	s_cmp_eq_u32 s3, 0
	s_cselect_b32 s1, ttmp9, s2
	s_delay_alu instid0(SALU_CYCLE_1) | instskip(SKIP_1) | instid1(VALU_DEP_1)
	v_lshl_or_b32 v0, s1, 8, v0
	s_mov_b32 s1, exec_lo
	v_cmpx_gt_i64_e64 s[4:5], v[0:1]
	s_cbranch_execz .LBB80_9
; %bb.5:
	s_wait_kmcnt 0x0
	s_cmp_eq_f32 s0, 0
	s_cselect_b32 s1, -1, 0
	s_cmp_eq_f32 s11, 0
	s_cselect_b32 s2, -1, 0
	s_delay_alu instid0(SALU_CYCLE_1) | instskip(NEXT) | instid1(SALU_CYCLE_1)
	s_and_b32 s1, s1, s2
	s_and_not1_b32 vcc_lo, exec_lo, s1
	s_mov_b32 s1, -1
	s_cbranch_vccz .LBB80_7
; %bb.6:
	v_lshlrev_b64_e32 v[2:3], 3, v[0:1]
	s_mov_b32 s2, s11
	s_delay_alu instid0(VALU_DEP_1) | instskip(SKIP_4) | instid1(VALU_DEP_1)
	v_add_nc_u64_e32 v[4:5], s[6:7], v[2:3]
	v_add_nc_u64_e32 v[2:3], s[8:9], v[2:3]
	global_load_b64 v[4:5], v[4:5], off
	s_wait_loadcnt 0x0
	v_pk_mul_f32 v[6:7], s[2:3], v[4:5] op_sel:[0,1] op_sel_hi:[0,0] neg_lo:[0,1]
	v_pk_fma_f32 v[4:5], v[4:5], s[0:1], v[6:7] op_sel_hi:[1,0,1]
	s_mov_b32 s1, 0
	global_store_b64 v[2:3], v[4:5], off
.LBB80_7:
	s_and_not1_b32 vcc_lo, exec_lo, s1
	s_cbranch_vccnz .LBB80_9
; %bb.8:
	s_wait_xcnt 0x0
	v_mov_b64_e32 v[2:3], 0
	v_lshl_add_u64 v[0:1], v[0:1], 3, s[8:9]
	global_store_b64 v[0:1], v[2:3], off
.LBB80_9:
	s_endpgm
	.section	.rodata,"a",@progbits
	.p2align	6, 0x0
	.amdhsa_kernel _ZN9rocsparseL21copy_and_scale_kernelILj256E21rocsparse_complex_numIfEEEvlPKT0_PS3_NS_24const_host_device_scalarIS3_EEb
		.amdhsa_group_segment_fixed_size 0
		.amdhsa_private_segment_fixed_size 0
		.amdhsa_kernarg_size 36
		.amdhsa_user_sgpr_count 2
		.amdhsa_user_sgpr_dispatch_ptr 0
		.amdhsa_user_sgpr_queue_ptr 0
		.amdhsa_user_sgpr_kernarg_segment_ptr 1
		.amdhsa_user_sgpr_dispatch_id 0
		.amdhsa_user_sgpr_kernarg_preload_length 0
		.amdhsa_user_sgpr_kernarg_preload_offset 0
		.amdhsa_user_sgpr_private_segment_size 0
		.amdhsa_wavefront_size32 1
		.amdhsa_uses_dynamic_stack 0
		.amdhsa_enable_private_segment 0
		.amdhsa_system_sgpr_workgroup_id_x 1
		.amdhsa_system_sgpr_workgroup_id_y 0
		.amdhsa_system_sgpr_workgroup_id_z 0
		.amdhsa_system_sgpr_workgroup_info 0
		.amdhsa_system_vgpr_workitem_id 0
		.amdhsa_next_free_vgpr 8
		.amdhsa_next_free_sgpr 12
		.amdhsa_named_barrier_count 0
		.amdhsa_reserve_vcc 1
		.amdhsa_float_round_mode_32 0
		.amdhsa_float_round_mode_16_64 0
		.amdhsa_float_denorm_mode_32 3
		.amdhsa_float_denorm_mode_16_64 3
		.amdhsa_fp16_overflow 0
		.amdhsa_memory_ordered 1
		.amdhsa_forward_progress 1
		.amdhsa_inst_pref_size 3
		.amdhsa_round_robin_scheduling 0
		.amdhsa_exception_fp_ieee_invalid_op 0
		.amdhsa_exception_fp_denorm_src 0
		.amdhsa_exception_fp_ieee_div_zero 0
		.amdhsa_exception_fp_ieee_overflow 0
		.amdhsa_exception_fp_ieee_underflow 0
		.amdhsa_exception_fp_ieee_inexact 0
		.amdhsa_exception_int_div_zero 0
	.end_amdhsa_kernel
	.section	.text._ZN9rocsparseL21copy_and_scale_kernelILj256E21rocsparse_complex_numIfEEEvlPKT0_PS3_NS_24const_host_device_scalarIS3_EEb,"axG",@progbits,_ZN9rocsparseL21copy_and_scale_kernelILj256E21rocsparse_complex_numIfEEEvlPKT0_PS3_NS_24const_host_device_scalarIS3_EEb,comdat
.Lfunc_end80:
	.size	_ZN9rocsparseL21copy_and_scale_kernelILj256E21rocsparse_complex_numIfEEEvlPKT0_PS3_NS_24const_host_device_scalarIS3_EEb, .Lfunc_end80-_ZN9rocsparseL21copy_and_scale_kernelILj256E21rocsparse_complex_numIfEEEvlPKT0_PS3_NS_24const_host_device_scalarIS3_EEb
                                        ; -- End function
	.set _ZN9rocsparseL21copy_and_scale_kernelILj256E21rocsparse_complex_numIfEEEvlPKT0_PS3_NS_24const_host_device_scalarIS3_EEb.num_vgpr, 8
	.set _ZN9rocsparseL21copy_and_scale_kernelILj256E21rocsparse_complex_numIfEEEvlPKT0_PS3_NS_24const_host_device_scalarIS3_EEb.num_agpr, 0
	.set _ZN9rocsparseL21copy_and_scale_kernelILj256E21rocsparse_complex_numIfEEEvlPKT0_PS3_NS_24const_host_device_scalarIS3_EEb.numbered_sgpr, 12
	.set _ZN9rocsparseL21copy_and_scale_kernelILj256E21rocsparse_complex_numIfEEEvlPKT0_PS3_NS_24const_host_device_scalarIS3_EEb.num_named_barrier, 0
	.set _ZN9rocsparseL21copy_and_scale_kernelILj256E21rocsparse_complex_numIfEEEvlPKT0_PS3_NS_24const_host_device_scalarIS3_EEb.private_seg_size, 0
	.set _ZN9rocsparseL21copy_and_scale_kernelILj256E21rocsparse_complex_numIfEEEvlPKT0_PS3_NS_24const_host_device_scalarIS3_EEb.uses_vcc, 1
	.set _ZN9rocsparseL21copy_and_scale_kernelILj256E21rocsparse_complex_numIfEEEvlPKT0_PS3_NS_24const_host_device_scalarIS3_EEb.uses_flat_scratch, 0
	.set _ZN9rocsparseL21copy_and_scale_kernelILj256E21rocsparse_complex_numIfEEEvlPKT0_PS3_NS_24const_host_device_scalarIS3_EEb.has_dyn_sized_stack, 0
	.set _ZN9rocsparseL21copy_and_scale_kernelILj256E21rocsparse_complex_numIfEEEvlPKT0_PS3_NS_24const_host_device_scalarIS3_EEb.has_recursion, 0
	.set _ZN9rocsparseL21copy_and_scale_kernelILj256E21rocsparse_complex_numIfEEEvlPKT0_PS3_NS_24const_host_device_scalarIS3_EEb.has_indirect_call, 0
	.section	.AMDGPU.csdata,"",@progbits
; Kernel info:
; codeLenInByte = 296
; TotalNumSgprs: 14
; NumVgprs: 8
; ScratchSize: 0
; MemoryBound: 0
; FloatMode: 240
; IeeeMode: 1
; LDSByteSize: 0 bytes/workgroup (compile time only)
; SGPRBlocks: 0
; VGPRBlocks: 0
; NumSGPRsForWavesPerEU: 14
; NumVGPRsForWavesPerEU: 8
; NamedBarCnt: 0
; Occupancy: 16
; WaveLimiterHint : 0
; COMPUTE_PGM_RSRC2:SCRATCH_EN: 0
; COMPUTE_PGM_RSRC2:USER_SGPR: 2
; COMPUTE_PGM_RSRC2:TRAP_HANDLER: 0
; COMPUTE_PGM_RSRC2:TGID_X_EN: 1
; COMPUTE_PGM_RSRC2:TGID_Y_EN: 0
; COMPUTE_PGM_RSRC2:TGID_Z_EN: 0
; COMPUTE_PGM_RSRC2:TIDIG_COMP_CNT: 0
	.section	.text._ZN9rocsparseL21copy_and_scale_kernelILj256E21rocsparse_complex_numIdEEEvlPKT0_PS3_NS_24const_host_device_scalarIS3_EEb,"axG",@progbits,_ZN9rocsparseL21copy_and_scale_kernelILj256E21rocsparse_complex_numIdEEEvlPKT0_PS3_NS_24const_host_device_scalarIS3_EEb,comdat
	.globl	_ZN9rocsparseL21copy_and_scale_kernelILj256E21rocsparse_complex_numIdEEEvlPKT0_PS3_NS_24const_host_device_scalarIS3_EEb ; -- Begin function _ZN9rocsparseL21copy_and_scale_kernelILj256E21rocsparse_complex_numIdEEEvlPKT0_PS3_NS_24const_host_device_scalarIS3_EEb
	.p2align	8
	.type	_ZN9rocsparseL21copy_and_scale_kernelILj256E21rocsparse_complex_numIdEEEvlPKT0_PS3_NS_24const_host_device_scalarIS3_EEb,@function
_ZN9rocsparseL21copy_and_scale_kernelILj256E21rocsparse_complex_numIdEEEvlPKT0_PS3_NS_24const_host_device_scalarIS3_EEb: ; @_ZN9rocsparseL21copy_and_scale_kernelILj256E21rocsparse_complex_numIdEEEvlPKT0_PS3_NS_24const_host_device_scalarIS3_EEb
; %bb.0:
	s_clause 0x1
	s_load_b96 s[12:14], s[0:1], 0x20
	s_load_b256 s[4:11], s[0:1], 0x0
	v_mbcnt_lo_u32_b32 v1, -1, 0
	s_delay_alu instid0(VALU_DEP_1) | instskip(NEXT) | instid1(VALU_DEP_1)
	v_dual_mov_b32 v2, 0 :: v_dual_lshlrev_b32 v3, 20, v1
	v_add_nc_u64_e32 v[2:3], src_flat_scratch_base_lo, v[2:3]
	s_wait_kmcnt 0x0
	s_bitcmp1_b32 s14, 0
	v_mov_b64_e32 v[4:5], s[10:11]
	s_cselect_b32 vcc_lo, -1, 0
	v_mov_b64_e32 v[6:7], s[12:13]
	s_delay_alu instid0(VALU_DEP_3)
	v_cndmask_b32_e32 v3, s11, v3, vcc_lo
	v_cndmask_b32_e32 v2, s10, v2, vcc_lo
	s_and_b32 vcc_lo, exec_lo, vcc_lo
	scratch_store_b64 off, v[4:5], off
	flat_load_b64 v[4:5], v[2:3]
	s_cbranch_vccnz .LBB81_2
; %bb.1:
	v_mov_b32_e32 v1, 0
	flat_load_b64 v[6:7], v1, s[10:11] offset:8
.LBB81_2:
	s_bfe_u32 s0, ttmp6, 0x4000c
	s_and_b32 s1, ttmp6, 15
	s_add_co_i32 s0, s0, 1
	s_getreg_b32 s2, hwreg(HW_REG_IB_STS2, 6, 4)
	s_mul_i32 s0, ttmp9, s0
	v_mov_b32_e32 v9, 0
	s_add_co_i32 s1, s1, s0
	s_cmp_eq_u32 s2, 0
	s_cselect_b32 s0, ttmp9, s1
	s_delay_alu instid0(SALU_CYCLE_1) | instskip(SKIP_2) | instid1(VALU_DEP_1)
	v_lshl_or_b32 v8, s0, 8, v0
	s_mov_b32 s0, exec_lo
	s_wait_xcnt 0x0
	v_cmpx_gt_i64_e64 s[4:5], v[8:9]
	s_cbranch_execz .LBB81_6
; %bb.3:
	s_wait_loadcnt_dscnt 0x0
	v_cmp_neq_f64_e32 vcc_lo, 0, v[4:5]
	v_cmp_neq_f64_e64 s0, 0, v[6:7]
	v_mov_b64_e32 v[0:1], 0
	v_mov_b64_e32 v[2:3], 0
	s_or_b32 s1, vcc_lo, s0
	s_delay_alu instid0(SALU_CYCLE_1)
	s_and_saveexec_b32 s0, s1
	s_cbranch_execz .LBB81_5
; %bb.4:
	v_lshl_add_u64 v[0:1], v[8:9], 4, s[6:7]
	global_load_b128 v[10:13], v[0:1], off
	s_wait_loadcnt 0x0
	v_mul_f64_e64 v[0:1], v[6:7], -v[12:13]
	v_mul_f64_e32 v[2:3], v[6:7], v[10:11]
	s_delay_alu instid0(VALU_DEP_2) | instskip(NEXT) | instid1(VALU_DEP_2)
	v_fmac_f64_e32 v[0:1], v[10:11], v[4:5]
	v_fmac_f64_e32 v[2:3], v[12:13], v[4:5]
.LBB81_5:
	s_or_b32 exec_lo, exec_lo, s0
	v_lshl_add_u64 v[4:5], v[8:9], 4, s[8:9]
	global_store_b128 v[4:5], v[0:3], off
.LBB81_6:
	s_endpgm
	.section	.rodata,"a",@progbits
	.p2align	6, 0x0
	.amdhsa_kernel _ZN9rocsparseL21copy_and_scale_kernelILj256E21rocsparse_complex_numIdEEEvlPKT0_PS3_NS_24const_host_device_scalarIS3_EEb
		.amdhsa_group_segment_fixed_size 0
		.amdhsa_private_segment_fixed_size 16
		.amdhsa_kernarg_size 44
		.amdhsa_user_sgpr_count 2
		.amdhsa_user_sgpr_dispatch_ptr 0
		.amdhsa_user_sgpr_queue_ptr 0
		.amdhsa_user_sgpr_kernarg_segment_ptr 1
		.amdhsa_user_sgpr_dispatch_id 0
		.amdhsa_user_sgpr_kernarg_preload_length 0
		.amdhsa_user_sgpr_kernarg_preload_offset 0
		.amdhsa_user_sgpr_private_segment_size 0
		.amdhsa_wavefront_size32 1
		.amdhsa_uses_dynamic_stack 0
		.amdhsa_enable_private_segment 1
		.amdhsa_system_sgpr_workgroup_id_x 1
		.amdhsa_system_sgpr_workgroup_id_y 0
		.amdhsa_system_sgpr_workgroup_id_z 0
		.amdhsa_system_sgpr_workgroup_info 0
		.amdhsa_system_vgpr_workitem_id 0
		.amdhsa_next_free_vgpr 14
		.amdhsa_next_free_sgpr 15
		.amdhsa_named_barrier_count 0
		.amdhsa_reserve_vcc 1
		.amdhsa_float_round_mode_32 0
		.amdhsa_float_round_mode_16_64 0
		.amdhsa_float_denorm_mode_32 3
		.amdhsa_float_denorm_mode_16_64 3
		.amdhsa_fp16_overflow 0
		.amdhsa_memory_ordered 1
		.amdhsa_forward_progress 1
		.amdhsa_inst_pref_size 3
		.amdhsa_round_robin_scheduling 0
		.amdhsa_exception_fp_ieee_invalid_op 0
		.amdhsa_exception_fp_denorm_src 0
		.amdhsa_exception_fp_ieee_div_zero 0
		.amdhsa_exception_fp_ieee_overflow 0
		.amdhsa_exception_fp_ieee_underflow 0
		.amdhsa_exception_fp_ieee_inexact 0
		.amdhsa_exception_int_div_zero 0
	.end_amdhsa_kernel
	.section	.text._ZN9rocsparseL21copy_and_scale_kernelILj256E21rocsparse_complex_numIdEEEvlPKT0_PS3_NS_24const_host_device_scalarIS3_EEb,"axG",@progbits,_ZN9rocsparseL21copy_and_scale_kernelILj256E21rocsparse_complex_numIdEEEvlPKT0_PS3_NS_24const_host_device_scalarIS3_EEb,comdat
.Lfunc_end81:
	.size	_ZN9rocsparseL21copy_and_scale_kernelILj256E21rocsparse_complex_numIdEEEvlPKT0_PS3_NS_24const_host_device_scalarIS3_EEb, .Lfunc_end81-_ZN9rocsparseL21copy_and_scale_kernelILj256E21rocsparse_complex_numIdEEEvlPKT0_PS3_NS_24const_host_device_scalarIS3_EEb
                                        ; -- End function
	.set _ZN9rocsparseL21copy_and_scale_kernelILj256E21rocsparse_complex_numIdEEEvlPKT0_PS3_NS_24const_host_device_scalarIS3_EEb.num_vgpr, 14
	.set _ZN9rocsparseL21copy_and_scale_kernelILj256E21rocsparse_complex_numIdEEEvlPKT0_PS3_NS_24const_host_device_scalarIS3_EEb.num_agpr, 0
	.set _ZN9rocsparseL21copy_and_scale_kernelILj256E21rocsparse_complex_numIdEEEvlPKT0_PS3_NS_24const_host_device_scalarIS3_EEb.numbered_sgpr, 15
	.set _ZN9rocsparseL21copy_and_scale_kernelILj256E21rocsparse_complex_numIdEEEvlPKT0_PS3_NS_24const_host_device_scalarIS3_EEb.num_named_barrier, 0
	.set _ZN9rocsparseL21copy_and_scale_kernelILj256E21rocsparse_complex_numIdEEEvlPKT0_PS3_NS_24const_host_device_scalarIS3_EEb.private_seg_size, 16
	.set _ZN9rocsparseL21copy_and_scale_kernelILj256E21rocsparse_complex_numIdEEEvlPKT0_PS3_NS_24const_host_device_scalarIS3_EEb.uses_vcc, 1
	.set _ZN9rocsparseL21copy_and_scale_kernelILj256E21rocsparse_complex_numIdEEEvlPKT0_PS3_NS_24const_host_device_scalarIS3_EEb.uses_flat_scratch, 0
	.set _ZN9rocsparseL21copy_and_scale_kernelILj256E21rocsparse_complex_numIdEEEvlPKT0_PS3_NS_24const_host_device_scalarIS3_EEb.has_dyn_sized_stack, 0
	.set _ZN9rocsparseL21copy_and_scale_kernelILj256E21rocsparse_complex_numIdEEEvlPKT0_PS3_NS_24const_host_device_scalarIS3_EEb.has_recursion, 0
	.set _ZN9rocsparseL21copy_and_scale_kernelILj256E21rocsparse_complex_numIdEEEvlPKT0_PS3_NS_24const_host_device_scalarIS3_EEb.has_indirect_call, 0
	.section	.AMDGPU.csdata,"",@progbits
; Kernel info:
; codeLenInByte = 312
; TotalNumSgprs: 17
; NumVgprs: 14
; ScratchSize: 16
; MemoryBound: 0
; FloatMode: 240
; IeeeMode: 1
; LDSByteSize: 0 bytes/workgroup (compile time only)
; SGPRBlocks: 0
; VGPRBlocks: 0
; NumSGPRsForWavesPerEU: 17
; NumVGPRsForWavesPerEU: 14
; NamedBarCnt: 0
; Occupancy: 16
; WaveLimiterHint : 0
; COMPUTE_PGM_RSRC2:SCRATCH_EN: 1
; COMPUTE_PGM_RSRC2:USER_SGPR: 2
; COMPUTE_PGM_RSRC2:TRAP_HANDLER: 0
; COMPUTE_PGM_RSRC2:TGID_X_EN: 1
; COMPUTE_PGM_RSRC2:TGID_Y_EN: 0
; COMPUTE_PGM_RSRC2:TGID_Z_EN: 0
; COMPUTE_PGM_RSRC2:TIDIG_COMP_CNT: 0
	.section	.AMDGPU.gpr_maximums,"",@progbits
	.set amdgpu.max_num_vgpr, 0
	.set amdgpu.max_num_agpr, 0
	.set amdgpu.max_num_sgpr, 0
	.section	.AMDGPU.csdata,"",@progbits
	.type	__hip_cuid_2a1f968883fd8d7c,@object ; @__hip_cuid_2a1f968883fd8d7c
	.section	.bss,"aw",@nobits
	.globl	__hip_cuid_2a1f968883fd8d7c
__hip_cuid_2a1f968883fd8d7c:
	.byte	0                               ; 0x0
	.size	__hip_cuid_2a1f968883fd8d7c, 1

	.ident	"AMD clang version 22.0.0git (https://github.com/RadeonOpenCompute/llvm-project roc-7.2.4 26084 f58b06dce1f9c15707c5f808fd002e18c2accf7e)"
	.section	".note.GNU-stack","",@progbits
	.addrsig
	.addrsig_sym __hip_cuid_2a1f968883fd8d7c
	.amdgpu_metadata
---
amdhsa.kernels:
  - .args:
      - .offset:         0
        .size:           4
        .value_kind:     by_value
      - .offset:         4
        .size:           4
        .value_kind:     by_value
      - .offset:         8
        .size:           4
        .value_kind:     by_value
      - .address_space:  global
        .offset:         16
        .size:           8
        .value_kind:     global_buffer
      - .offset:         24
        .size:           8
        .value_kind:     by_value
      - .address_space:  global
        .offset:         32
        .size:           8
        .value_kind:     global_buffer
      - .offset:         40
        .size:           8
        .value_kind:     by_value
    .group_segment_fixed_size: 4096
    .kernarg_segment_align: 8
    .kernarg_segment_size: 48
    .language:       OpenCL C
    .language_version:
      - 2
      - 0
    .max_flat_workgroup_size: 256
    .name:           _ZN9rocsparseL22dense_transpose_kernelILj32ELj8EiffEEvT1_S1_T3_PKT2_lPS3_l
    .private_segment_fixed_size: 0
    .sgpr_count:     17
    .sgpr_spill_count: 0
    .symbol:         _ZN9rocsparseL22dense_transpose_kernelILj32ELj8EiffEEvT1_S1_T3_PKT2_lPS3_l.kd
    .uniform_work_group_size: 1
    .uses_dynamic_stack: false
    .vgpr_count:     20
    .vgpr_spill_count: 0
    .wavefront_size: 32
  - .args:
      - .offset:         0
        .size:           4
        .value_kind:     by_value
      - .offset:         4
        .size:           4
        .value_kind:     by_value
      - .address_space:  global
        .offset:         8
        .size:           8
        .value_kind:     global_buffer
      - .address_space:  global
        .offset:         16
        .size:           8
        .value_kind:     global_buffer
      - .offset:         24
        .size:           8
        .value_kind:     by_value
      - .address_space:  global
        .offset:         32
        .size:           8
        .value_kind:     global_buffer
      - .offset:         40
        .size:           8
        .value_kind:     by_value
    .group_segment_fixed_size: 4096
    .kernarg_segment_align: 8
    .kernarg_segment_size: 48
    .language:       OpenCL C
    .language_version:
      - 2
      - 0
    .max_flat_workgroup_size: 256
    .name:           _ZN9rocsparseL22dense_transpose_kernelILj32ELj8EifPKfEEvT1_S3_T3_PKT2_lPS5_l
    .private_segment_fixed_size: 0
    .sgpr_count:     17
    .sgpr_spill_count: 0
    .symbol:         _ZN9rocsparseL22dense_transpose_kernelILj32ELj8EifPKfEEvT1_S3_T3_PKT2_lPS5_l.kd
    .uniform_work_group_size: 1
    .uses_dynamic_stack: false
    .vgpr_count:     20
    .vgpr_spill_count: 0
    .wavefront_size: 32
  - .args:
      - .offset:         0
        .size:           4
        .value_kind:     by_value
      - .offset:         4
        .size:           4
        .value_kind:     by_value
      - .offset:         8
        .size:           8
        .value_kind:     by_value
      - .address_space:  global
        .offset:         16
        .size:           8
        .value_kind:     global_buffer
      - .offset:         24
        .size:           8
        .value_kind:     by_value
      - .address_space:  global
        .offset:         32
        .size:           8
        .value_kind:     global_buffer
      - .offset:         40
        .size:           8
        .value_kind:     by_value
    .group_segment_fixed_size: 8192
    .kernarg_segment_align: 8
    .kernarg_segment_size: 48
    .language:       OpenCL C
    .language_version:
      - 2
      - 0
    .max_flat_workgroup_size: 256
    .name:           _ZN9rocsparseL22dense_transpose_kernelILj32ELj8EiddEEvT1_S1_T3_PKT2_lPS3_l
    .private_segment_fixed_size: 0
    .sgpr_count:     18
    .sgpr_spill_count: 0
    .symbol:         _ZN9rocsparseL22dense_transpose_kernelILj32ELj8EiddEEvT1_S1_T3_PKT2_lPS3_l.kd
    .uniform_work_group_size: 1
    .uses_dynamic_stack: false
    .vgpr_count:     22
    .vgpr_spill_count: 0
    .wavefront_size: 32
  - .args:
      - .offset:         0
        .size:           4
        .value_kind:     by_value
      - .offset:         4
        .size:           4
        .value_kind:     by_value
      - .address_space:  global
        .offset:         8
        .size:           8
        .value_kind:     global_buffer
      - .address_space:  global
        .offset:         16
        .size:           8
        .value_kind:     global_buffer
      - .offset:         24
        .size:           8
        .value_kind:     by_value
      - .address_space:  global
        .offset:         32
        .size:           8
        .value_kind:     global_buffer
      - .offset:         40
        .size:           8
        .value_kind:     by_value
    .group_segment_fixed_size: 8192
    .kernarg_segment_align: 8
    .kernarg_segment_size: 48
    .language:       OpenCL C
    .language_version:
      - 2
      - 0
    .max_flat_workgroup_size: 256
    .name:           _ZN9rocsparseL22dense_transpose_kernelILj32ELj8EidPKdEEvT1_S3_T3_PKT2_lPS5_l
    .private_segment_fixed_size: 0
    .sgpr_count:     19
    .sgpr_spill_count: 0
    .symbol:         _ZN9rocsparseL22dense_transpose_kernelILj32ELj8EidPKdEEvT1_S3_T3_PKT2_lPS5_l.kd
    .uniform_work_group_size: 1
    .uses_dynamic_stack: false
    .vgpr_count:     22
    .vgpr_spill_count: 0
    .wavefront_size: 32
  - .args:
      - .offset:         0
        .size:           4
        .value_kind:     by_value
      - .offset:         4
        .size:           4
        .value_kind:     by_value
      - .offset:         8
        .size:           8
        .value_kind:     by_value
      - .address_space:  global
        .offset:         16
        .size:           8
        .value_kind:     global_buffer
      - .offset:         24
        .size:           8
        .value_kind:     by_value
      - .address_space:  global
        .offset:         32
        .size:           8
        .value_kind:     global_buffer
      - .offset:         40
        .size:           8
        .value_kind:     by_value
    .group_segment_fixed_size: 8192
    .kernarg_segment_align: 8
    .kernarg_segment_size: 48
    .language:       OpenCL C
    .language_version:
      - 2
      - 0
    .max_flat_workgroup_size: 256
    .name:           _ZN9rocsparseL22dense_transpose_kernelILj32ELj8Ei21rocsparse_complex_numIfES2_EEvT1_S3_T3_PKT2_lPS5_l
    .private_segment_fixed_size: 0
    .sgpr_count:     19
    .sgpr_spill_count: 0
    .symbol:         _ZN9rocsparseL22dense_transpose_kernelILj32ELj8Ei21rocsparse_complex_numIfES2_EEvT1_S3_T3_PKT2_lPS5_l.kd
    .uniform_work_group_size: 1
    .uses_dynamic_stack: false
    .vgpr_count:     26
    .vgpr_spill_count: 0
    .wavefront_size: 32
  - .args:
      - .offset:         0
        .size:           4
        .value_kind:     by_value
      - .offset:         4
        .size:           4
        .value_kind:     by_value
      - .address_space:  global
        .offset:         8
        .size:           8
        .value_kind:     global_buffer
      - .address_space:  global
        .offset:         16
        .size:           8
        .value_kind:     global_buffer
      - .offset:         24
        .size:           8
        .value_kind:     by_value
      - .address_space:  global
        .offset:         32
        .size:           8
        .value_kind:     global_buffer
      - .offset:         40
        .size:           8
        .value_kind:     by_value
    .group_segment_fixed_size: 8192
    .kernarg_segment_align: 8
    .kernarg_segment_size: 48
    .language:       OpenCL C
    .language_version:
      - 2
      - 0
    .max_flat_workgroup_size: 256
    .name:           _ZN9rocsparseL22dense_transpose_kernelILj32ELj8Ei21rocsparse_complex_numIfEPKS2_EEvT1_S5_T3_PKT2_lPS7_l
    .private_segment_fixed_size: 0
    .sgpr_count:     19
    .sgpr_spill_count: 0
    .symbol:         _ZN9rocsparseL22dense_transpose_kernelILj32ELj8Ei21rocsparse_complex_numIfEPKS2_EEvT1_S5_T3_PKT2_lPS7_l.kd
    .uniform_work_group_size: 1
    .uses_dynamic_stack: false
    .vgpr_count:     26
    .vgpr_spill_count: 0
    .wavefront_size: 32
  - .args:
      - .offset:         0
        .size:           4
        .value_kind:     by_value
      - .offset:         4
        .size:           4
        .value_kind:     by_value
      - .offset:         8
        .size:           16
        .value_kind:     by_value
      - .address_space:  global
        .offset:         24
        .size:           8
        .value_kind:     global_buffer
      - .offset:         32
        .size:           8
        .value_kind:     by_value
      - .address_space:  global
        .offset:         40
        .size:           8
        .value_kind:     global_buffer
      - .offset:         48
        .size:           8
        .value_kind:     by_value
    .group_segment_fixed_size: 16384
    .kernarg_segment_align: 8
    .kernarg_segment_size: 56
    .language:       OpenCL C
    .language_version:
      - 2
      - 0
    .max_flat_workgroup_size: 256
    .name:           _ZN9rocsparseL22dense_transpose_kernelILj32ELj8Ei21rocsparse_complex_numIdES2_EEvT1_S3_T3_PKT2_lPS5_l
    .private_segment_fixed_size: 0
    .sgpr_count:     22
    .sgpr_spill_count: 0
    .symbol:         _ZN9rocsparseL22dense_transpose_kernelILj32ELj8Ei21rocsparse_complex_numIdES2_EEvT1_S3_T3_PKT2_lPS5_l.kd
    .uniform_work_group_size: 1
    .uses_dynamic_stack: false
    .vgpr_count:     30
    .vgpr_spill_count: 0
    .wavefront_size: 32
  - .args:
      - .offset:         0
        .size:           4
        .value_kind:     by_value
      - .offset:         4
        .size:           4
        .value_kind:     by_value
      - .address_space:  global
        .offset:         8
        .size:           8
        .value_kind:     global_buffer
      - .address_space:  global
        .offset:         16
        .size:           8
        .value_kind:     global_buffer
      - .offset:         24
        .size:           8
        .value_kind:     by_value
      - .address_space:  global
        .offset:         32
        .size:           8
        .value_kind:     global_buffer
      - .offset:         40
        .size:           8
        .value_kind:     by_value
    .group_segment_fixed_size: 16384
    .kernarg_segment_align: 8
    .kernarg_segment_size: 48
    .language:       OpenCL C
    .language_version:
      - 2
      - 0
    .max_flat_workgroup_size: 256
    .name:           _ZN9rocsparseL22dense_transpose_kernelILj32ELj8Ei21rocsparse_complex_numIdEPKS2_EEvT1_S5_T3_PKT2_lPS7_l
    .private_segment_fixed_size: 0
    .sgpr_count:     20
    .sgpr_spill_count: 0
    .symbol:         _ZN9rocsparseL22dense_transpose_kernelILj32ELj8Ei21rocsparse_complex_numIdEPKS2_EEvT1_S5_T3_PKT2_lPS7_l.kd
    .uniform_work_group_size: 1
    .uses_dynamic_stack: false
    .vgpr_count:     30
    .vgpr_spill_count: 0
    .wavefront_size: 32
  - .args:
      - .offset:         0
        .size:           8
        .value_kind:     by_value
      - .offset:         8
        .size:           8
        .value_kind:     by_value
      - .offset:         16
        .size:           4
        .value_kind:     by_value
      - .address_space:  global
        .offset:         24
        .size:           8
        .value_kind:     global_buffer
      - .offset:         32
        .size:           8
        .value_kind:     by_value
      - .address_space:  global
        .offset:         40
        .size:           8
        .value_kind:     global_buffer
      - .offset:         48
        .size:           8
        .value_kind:     by_value
    .group_segment_fixed_size: 4096
    .kernarg_segment_align: 8
    .kernarg_segment_size: 56
    .language:       OpenCL C
    .language_version:
      - 2
      - 0
    .max_flat_workgroup_size: 256
    .name:           _ZN9rocsparseL22dense_transpose_kernelILj32ELj8ElffEEvT1_S1_T3_PKT2_lPS3_l
    .private_segment_fixed_size: 0
    .sgpr_count:     19
    .sgpr_spill_count: 0
    .symbol:         _ZN9rocsparseL22dense_transpose_kernelILj32ELj8ElffEEvT1_S1_T3_PKT2_lPS3_l.kd
    .uniform_work_group_size: 1
    .uses_dynamic_stack: false
    .vgpr_count:     32
    .vgpr_spill_count: 0
    .wavefront_size: 32
  - .args:
      - .offset:         0
        .size:           8
        .value_kind:     by_value
      - .offset:         8
        .size:           8
        .value_kind:     by_value
      - .address_space:  global
        .offset:         16
        .size:           8
        .value_kind:     global_buffer
      - .address_space:  global
        .offset:         24
        .size:           8
        .value_kind:     global_buffer
      - .offset:         32
        .size:           8
        .value_kind:     by_value
      - .address_space:  global
        .offset:         40
        .size:           8
        .value_kind:     global_buffer
      - .offset:         48
        .size:           8
        .value_kind:     by_value
    .group_segment_fixed_size: 4096
    .kernarg_segment_align: 8
    .kernarg_segment_size: 56
    .language:       OpenCL C
    .language_version:
      - 2
      - 0
    .max_flat_workgroup_size: 256
    .name:           _ZN9rocsparseL22dense_transpose_kernelILj32ELj8ElfPKfEEvT1_S3_T3_PKT2_lPS5_l
    .private_segment_fixed_size: 0
    .sgpr_count:     22
    .sgpr_spill_count: 0
    .symbol:         _ZN9rocsparseL22dense_transpose_kernelILj32ELj8ElfPKfEEvT1_S3_T3_PKT2_lPS5_l.kd
    .uniform_work_group_size: 1
    .uses_dynamic_stack: false
    .vgpr_count:     32
    .vgpr_spill_count: 0
    .wavefront_size: 32
  - .args:
      - .offset:         0
        .size:           8
        .value_kind:     by_value
      - .offset:         8
        .size:           8
        .value_kind:     by_value
      - .offset:         16
        .size:           8
        .value_kind:     by_value
      - .address_space:  global
        .offset:         24
        .size:           8
        .value_kind:     global_buffer
      - .offset:         32
        .size:           8
        .value_kind:     by_value
      - .address_space:  global
        .offset:         40
        .size:           8
        .value_kind:     global_buffer
      - .offset:         48
        .size:           8
        .value_kind:     by_value
    .group_segment_fixed_size: 8192
    .kernarg_segment_align: 8
    .kernarg_segment_size: 56
    .language:       OpenCL C
    .language_version:
      - 2
      - 0
    .max_flat_workgroup_size: 256
    .name:           _ZN9rocsparseL22dense_transpose_kernelILj32ELj8ElddEEvT1_S1_T3_PKT2_lPS3_l
    .private_segment_fixed_size: 0
    .sgpr_count:     22
    .sgpr_spill_count: 0
    .symbol:         _ZN9rocsparseL22dense_transpose_kernelILj32ELj8ElddEEvT1_S1_T3_PKT2_lPS3_l.kd
    .uniform_work_group_size: 1
    .uses_dynamic_stack: false
    .vgpr_count:     32
    .vgpr_spill_count: 0
    .wavefront_size: 32
  - .args:
      - .offset:         0
        .size:           8
        .value_kind:     by_value
      - .offset:         8
        .size:           8
        .value_kind:     by_value
      - .address_space:  global
        .offset:         16
        .size:           8
        .value_kind:     global_buffer
      - .address_space:  global
        .offset:         24
        .size:           8
        .value_kind:     global_buffer
      - .offset:         32
        .size:           8
        .value_kind:     by_value
      - .address_space:  global
        .offset:         40
        .size:           8
        .value_kind:     global_buffer
      - .offset:         48
        .size:           8
        .value_kind:     by_value
    .group_segment_fixed_size: 8192
    .kernarg_segment_align: 8
    .kernarg_segment_size: 56
    .language:       OpenCL C
    .language_version:
      - 2
      - 0
    .max_flat_workgroup_size: 256
    .name:           _ZN9rocsparseL22dense_transpose_kernelILj32ELj8EldPKdEEvT1_S3_T3_PKT2_lPS5_l
    .private_segment_fixed_size: 0
    .sgpr_count:     22
    .sgpr_spill_count: 0
    .symbol:         _ZN9rocsparseL22dense_transpose_kernelILj32ELj8EldPKdEEvT1_S3_T3_PKT2_lPS5_l.kd
    .uniform_work_group_size: 1
    .uses_dynamic_stack: false
    .vgpr_count:     32
    .vgpr_spill_count: 0
    .wavefront_size: 32
  - .args:
      - .offset:         0
        .size:           8
        .value_kind:     by_value
      - .offset:         8
        .size:           8
        .value_kind:     by_value
      - .offset:         16
        .size:           8
        .value_kind:     by_value
      - .address_space:  global
        .offset:         24
        .size:           8
        .value_kind:     global_buffer
      - .offset:         32
        .size:           8
        .value_kind:     by_value
      - .address_space:  global
        .offset:         40
        .size:           8
        .value_kind:     global_buffer
      - .offset:         48
        .size:           8
        .value_kind:     by_value
    .group_segment_fixed_size: 8192
    .kernarg_segment_align: 8
    .kernarg_segment_size: 56
    .language:       OpenCL C
    .language_version:
      - 2
      - 0
    .max_flat_workgroup_size: 256
    .name:           _ZN9rocsparseL22dense_transpose_kernelILj32ELj8El21rocsparse_complex_numIfES2_EEvT1_S3_T3_PKT2_lPS5_l
    .private_segment_fixed_size: 0
    .sgpr_count:     20
    .sgpr_spill_count: 0
    .symbol:         _ZN9rocsparseL22dense_transpose_kernelILj32ELj8El21rocsparse_complex_numIfES2_EEvT1_S3_T3_PKT2_lPS5_l.kd
    .uniform_work_group_size: 1
    .uses_dynamic_stack: false
    .vgpr_count:     34
    .vgpr_spill_count: 0
    .wavefront_size: 32
  - .args:
      - .offset:         0
        .size:           8
        .value_kind:     by_value
      - .offset:         8
        .size:           8
        .value_kind:     by_value
      - .address_space:  global
        .offset:         16
        .size:           8
        .value_kind:     global_buffer
      - .address_space:  global
        .offset:         24
        .size:           8
        .value_kind:     global_buffer
      - .offset:         32
        .size:           8
        .value_kind:     by_value
      - .address_space:  global
        .offset:         40
        .size:           8
        .value_kind:     global_buffer
      - .offset:         48
        .size:           8
        .value_kind:     by_value
    .group_segment_fixed_size: 8192
    .kernarg_segment_align: 8
    .kernarg_segment_size: 56
    .language:       OpenCL C
    .language_version:
      - 2
      - 0
    .max_flat_workgroup_size: 256
    .name:           _ZN9rocsparseL22dense_transpose_kernelILj32ELj8El21rocsparse_complex_numIfEPKS2_EEvT1_S5_T3_PKT2_lPS7_l
    .private_segment_fixed_size: 0
    .sgpr_count:     22
    .sgpr_spill_count: 0
    .symbol:         _ZN9rocsparseL22dense_transpose_kernelILj32ELj8El21rocsparse_complex_numIfEPKS2_EEvT1_S5_T3_PKT2_lPS7_l.kd
    .uniform_work_group_size: 1
    .uses_dynamic_stack: false
    .vgpr_count:     34
    .vgpr_spill_count: 0
    .wavefront_size: 32
  - .args:
      - .offset:         0
        .size:           8
        .value_kind:     by_value
      - .offset:         8
        .size:           8
        .value_kind:     by_value
      - .offset:         16
        .size:           16
        .value_kind:     by_value
      - .address_space:  global
        .offset:         32
        .size:           8
        .value_kind:     global_buffer
      - .offset:         40
        .size:           8
        .value_kind:     by_value
      - .address_space:  global
        .offset:         48
        .size:           8
        .value_kind:     global_buffer
      - .offset:         56
        .size:           8
        .value_kind:     by_value
    .group_segment_fixed_size: 16384
    .kernarg_segment_align: 8
    .kernarg_segment_size: 64
    .language:       OpenCL C
    .language_version:
      - 2
      - 0
    .max_flat_workgroup_size: 256
    .name:           _ZN9rocsparseL22dense_transpose_kernelILj32ELj8El21rocsparse_complex_numIdES2_EEvT1_S3_T3_PKT2_lPS5_l
    .private_segment_fixed_size: 0
    .sgpr_count:     22
    .sgpr_spill_count: 0
    .symbol:         _ZN9rocsparseL22dense_transpose_kernelILj32ELj8El21rocsparse_complex_numIdES2_EEvT1_S3_T3_PKT2_lPS5_l.kd
    .uniform_work_group_size: 1
    .uses_dynamic_stack: false
    .vgpr_count:     40
    .vgpr_spill_count: 0
    .wavefront_size: 32
  - .args:
      - .offset:         0
        .size:           8
        .value_kind:     by_value
      - .offset:         8
        .size:           8
        .value_kind:     by_value
      - .address_space:  global
        .offset:         16
        .size:           8
        .value_kind:     global_buffer
      - .address_space:  global
        .offset:         24
        .size:           8
        .value_kind:     global_buffer
      - .offset:         32
        .size:           8
        .value_kind:     by_value
      - .address_space:  global
        .offset:         40
        .size:           8
        .value_kind:     global_buffer
      - .offset:         48
        .size:           8
        .value_kind:     by_value
    .group_segment_fixed_size: 16384
    .kernarg_segment_align: 8
    .kernarg_segment_size: 56
    .language:       OpenCL C
    .language_version:
      - 2
      - 0
    .max_flat_workgroup_size: 256
    .name:           _ZN9rocsparseL22dense_transpose_kernelILj32ELj8El21rocsparse_complex_numIdEPKS2_EEvT1_S5_T3_PKT2_lPS7_l
    .private_segment_fixed_size: 0
    .sgpr_count:     22
    .sgpr_spill_count: 0
    .symbol:         _ZN9rocsparseL22dense_transpose_kernelILj32ELj8El21rocsparse_complex_numIdEPKS2_EEvT1_S5_T3_PKT2_lPS7_l.kd
    .uniform_work_group_size: 1
    .uses_dynamic_stack: false
    .vgpr_count:     40
    .vgpr_spill_count: 0
    .wavefront_size: 32
  - .args:
      - .offset:         0
        .size:           4
        .value_kind:     by_value
      - .offset:         4
        .size:           4
        .value_kind:     by_value
      - .address_space:  global
        .offset:         8
        .size:           8
        .value_kind:     global_buffer
      - .offset:         16
        .size:           8
        .value_kind:     by_value
      - .address_space:  global
        .offset:         24
        .size:           8
        .value_kind:     global_buffer
      - .offset:         32
        .size:           8
        .value_kind:     by_value
    .group_segment_fixed_size: 4096
    .kernarg_segment_align: 8
    .kernarg_segment_size: 40
    .language:       OpenCL C
    .language_version:
      - 2
      - 0
    .max_flat_workgroup_size: 256
    .name:           _ZN9rocsparseL27dense_transpose_back_kernelILj32ELj8EifEEvT1_S1_PKT2_lPS2_l
    .private_segment_fixed_size: 0
    .sgpr_count:     18
    .sgpr_spill_count: 0
    .symbol:         _ZN9rocsparseL27dense_transpose_back_kernelILj32ELj8EifEEvT1_S1_PKT2_lPS2_l.kd
    .uniform_work_group_size: 1
    .uses_dynamic_stack: false
    .vgpr_count:     20
    .vgpr_spill_count: 0
    .wavefront_size: 32
  - .args:
      - .offset:         0
        .size:           4
        .value_kind:     by_value
      - .offset:         4
        .size:           4
        .value_kind:     by_value
      - .address_space:  global
        .offset:         8
        .size:           8
        .value_kind:     global_buffer
      - .offset:         16
        .size:           8
        .value_kind:     by_value
      - .address_space:  global
        .offset:         24
        .size:           8
        .value_kind:     global_buffer
      - .offset:         32
        .size:           8
        .value_kind:     by_value
    .group_segment_fixed_size: 8192
    .kernarg_segment_align: 8
    .kernarg_segment_size: 40
    .language:       OpenCL C
    .language_version:
      - 2
      - 0
    .max_flat_workgroup_size: 256
    .name:           _ZN9rocsparseL27dense_transpose_back_kernelILj32ELj8EidEEvT1_S1_PKT2_lPS2_l
    .private_segment_fixed_size: 0
    .sgpr_count:     18
    .sgpr_spill_count: 0
    .symbol:         _ZN9rocsparseL27dense_transpose_back_kernelILj32ELj8EidEEvT1_S1_PKT2_lPS2_l.kd
    .uniform_work_group_size: 1
    .uses_dynamic_stack: false
    .vgpr_count:     20
    .vgpr_spill_count: 0
    .wavefront_size: 32
  - .args:
      - .offset:         0
        .size:           4
        .value_kind:     by_value
      - .offset:         4
        .size:           4
        .value_kind:     by_value
      - .address_space:  global
        .offset:         8
        .size:           8
        .value_kind:     global_buffer
      - .offset:         16
        .size:           8
        .value_kind:     by_value
      - .address_space:  global
        .offset:         24
        .size:           8
        .value_kind:     global_buffer
      - .offset:         32
        .size:           8
        .value_kind:     by_value
    .group_segment_fixed_size: 8192
    .kernarg_segment_align: 8
    .kernarg_segment_size: 40
    .language:       OpenCL C
    .language_version:
      - 2
      - 0
    .max_flat_workgroup_size: 256
    .name:           _ZN9rocsparseL27dense_transpose_back_kernelILj32ELj8Ei21rocsparse_complex_numIfEEEvT1_S3_PKT2_lPS4_l
    .private_segment_fixed_size: 0
    .sgpr_count:     18
    .sgpr_spill_count: 0
    .symbol:         _ZN9rocsparseL27dense_transpose_back_kernelILj32ELj8Ei21rocsparse_complex_numIfEEEvT1_S3_PKT2_lPS4_l.kd
    .uniform_work_group_size: 1
    .uses_dynamic_stack: false
    .vgpr_count:     20
    .vgpr_spill_count: 0
    .wavefront_size: 32
  - .args:
      - .offset:         0
        .size:           4
        .value_kind:     by_value
      - .offset:         4
        .size:           4
        .value_kind:     by_value
      - .address_space:  global
        .offset:         8
        .size:           8
        .value_kind:     global_buffer
      - .offset:         16
        .size:           8
        .value_kind:     by_value
      - .address_space:  global
        .offset:         24
        .size:           8
        .value_kind:     global_buffer
      - .offset:         32
        .size:           8
        .value_kind:     by_value
    .group_segment_fixed_size: 16384
    .kernarg_segment_align: 8
    .kernarg_segment_size: 40
    .language:       OpenCL C
    .language_version:
      - 2
      - 0
    .max_flat_workgroup_size: 256
    .name:           _ZN9rocsparseL27dense_transpose_back_kernelILj32ELj8Ei21rocsparse_complex_numIdEEEvT1_S3_PKT2_lPS4_l
    .private_segment_fixed_size: 0
    .sgpr_count:     18
    .sgpr_spill_count: 0
    .symbol:         _ZN9rocsparseL27dense_transpose_back_kernelILj32ELj8Ei21rocsparse_complex_numIdEEEvT1_S3_PKT2_lPS4_l.kd
    .uniform_work_group_size: 1
    .uses_dynamic_stack: false
    .vgpr_count:     28
    .vgpr_spill_count: 0
    .wavefront_size: 32
  - .args:
      - .offset:         0
        .size:           8
        .value_kind:     by_value
      - .offset:         8
        .size:           8
        .value_kind:     by_value
      - .address_space:  global
        .offset:         16
        .size:           8
        .value_kind:     global_buffer
      - .offset:         24
        .size:           8
        .value_kind:     by_value
      - .address_space:  global
        .offset:         32
        .size:           8
        .value_kind:     global_buffer
      - .offset:         40
        .size:           8
        .value_kind:     by_value
    .group_segment_fixed_size: 4096
    .kernarg_segment_align: 8
    .kernarg_segment_size: 48
    .language:       OpenCL C
    .language_version:
      - 2
      - 0
    .max_flat_workgroup_size: 256
    .name:           _ZN9rocsparseL27dense_transpose_back_kernelILj32ELj8ElfEEvT1_S1_PKT2_lPS2_l
    .private_segment_fixed_size: 0
    .sgpr_count:     18
    .sgpr_spill_count: 0
    .symbol:         _ZN9rocsparseL27dense_transpose_back_kernelILj32ELj8ElfEEvT1_S1_PKT2_lPS2_l.kd
    .uniform_work_group_size: 1
    .uses_dynamic_stack: false
    .vgpr_count:     34
    .vgpr_spill_count: 0
    .wavefront_size: 32
  - .args:
      - .offset:         0
        .size:           8
        .value_kind:     by_value
      - .offset:         8
        .size:           8
        .value_kind:     by_value
      - .address_space:  global
        .offset:         16
        .size:           8
        .value_kind:     global_buffer
      - .offset:         24
        .size:           8
        .value_kind:     by_value
      - .address_space:  global
        .offset:         32
        .size:           8
        .value_kind:     global_buffer
      - .offset:         40
        .size:           8
        .value_kind:     by_value
    .group_segment_fixed_size: 8192
    .kernarg_segment_align: 8
    .kernarg_segment_size: 48
    .language:       OpenCL C
    .language_version:
      - 2
      - 0
    .max_flat_workgroup_size: 256
    .name:           _ZN9rocsparseL27dense_transpose_back_kernelILj32ELj8EldEEvT1_S1_PKT2_lPS2_l
    .private_segment_fixed_size: 0
    .sgpr_count:     18
    .sgpr_spill_count: 0
    .symbol:         _ZN9rocsparseL27dense_transpose_back_kernelILj32ELj8EldEEvT1_S1_PKT2_lPS2_l.kd
    .uniform_work_group_size: 1
    .uses_dynamic_stack: false
    .vgpr_count:     34
    .vgpr_spill_count: 0
    .wavefront_size: 32
  - .args:
      - .offset:         0
        .size:           8
        .value_kind:     by_value
      - .offset:         8
        .size:           8
        .value_kind:     by_value
      - .address_space:  global
        .offset:         16
        .size:           8
        .value_kind:     global_buffer
      - .offset:         24
        .size:           8
        .value_kind:     by_value
      - .address_space:  global
        .offset:         32
        .size:           8
        .value_kind:     global_buffer
      - .offset:         40
        .size:           8
        .value_kind:     by_value
    .group_segment_fixed_size: 8192
    .kernarg_segment_align: 8
    .kernarg_segment_size: 48
    .language:       OpenCL C
    .language_version:
      - 2
      - 0
    .max_flat_workgroup_size: 256
    .name:           _ZN9rocsparseL27dense_transpose_back_kernelILj32ELj8El21rocsparse_complex_numIfEEEvT1_S3_PKT2_lPS4_l
    .private_segment_fixed_size: 0
    .sgpr_count:     18
    .sgpr_spill_count: 0
    .symbol:         _ZN9rocsparseL27dense_transpose_back_kernelILj32ELj8El21rocsparse_complex_numIfEEEvT1_S3_PKT2_lPS4_l.kd
    .uniform_work_group_size: 1
    .uses_dynamic_stack: false
    .vgpr_count:     34
    .vgpr_spill_count: 0
    .wavefront_size: 32
  - .args:
      - .offset:         0
        .size:           8
        .value_kind:     by_value
      - .offset:         8
        .size:           8
        .value_kind:     by_value
      - .address_space:  global
        .offset:         16
        .size:           8
        .value_kind:     global_buffer
      - .offset:         24
        .size:           8
        .value_kind:     by_value
      - .address_space:  global
        .offset:         32
        .size:           8
        .value_kind:     global_buffer
      - .offset:         40
        .size:           8
        .value_kind:     by_value
    .group_segment_fixed_size: 16384
    .kernarg_segment_align: 8
    .kernarg_segment_size: 48
    .language:       OpenCL C
    .language_version:
      - 2
      - 0
    .max_flat_workgroup_size: 256
    .name:           _ZN9rocsparseL27dense_transpose_back_kernelILj32ELj8El21rocsparse_complex_numIdEEEvT1_S3_PKT2_lPS4_l
    .private_segment_fixed_size: 0
    .sgpr_count:     18
    .sgpr_spill_count: 0
    .symbol:         _ZN9rocsparseL27dense_transpose_back_kernelILj32ELj8El21rocsparse_complex_numIdEEEvT1_S3_PKT2_lPS4_l.kd
    .uniform_work_group_size: 1
    .uses_dynamic_stack: false
    .vgpr_count:     40
    .vgpr_spill_count: 0
    .wavefront_size: 32
  - .args:
      - .offset:         0
        .size:           4
        .value_kind:     by_value
      - .address_space:  global
        .offset:         8
        .size:           8
        .value_kind:     global_buffer
    .group_segment_fixed_size: 0
    .kernarg_segment_align: 8
    .kernarg_segment_size: 16
    .language:       OpenCL C
    .language_version:
      - 2
      - 0
    .max_flat_workgroup_size: 256
    .name:           _ZN9rocsparseL16conjugate_kernelILj256EifEEvT0_PT1_
    .private_segment_fixed_size: 0
    .sgpr_count:     0
    .sgpr_spill_count: 0
    .symbol:         _ZN9rocsparseL16conjugate_kernelILj256EifEEvT0_PT1_.kd
    .uniform_work_group_size: 1
    .uses_dynamic_stack: false
    .vgpr_count:     0
    .vgpr_spill_count: 0
    .wavefront_size: 32
  - .args:
      - .offset:         0
        .size:           4
        .value_kind:     by_value
      - .address_space:  global
        .offset:         8
        .size:           8
        .value_kind:     global_buffer
    .group_segment_fixed_size: 0
    .kernarg_segment_align: 8
    .kernarg_segment_size: 16
    .language:       OpenCL C
    .language_version:
      - 2
      - 0
    .max_flat_workgroup_size: 256
    .name:           _ZN9rocsparseL16conjugate_kernelILj256EidEEvT0_PT1_
    .private_segment_fixed_size: 0
    .sgpr_count:     0
    .sgpr_spill_count: 0
    .symbol:         _ZN9rocsparseL16conjugate_kernelILj256EidEEvT0_PT1_.kd
    .uniform_work_group_size: 1
    .uses_dynamic_stack: false
    .vgpr_count:     0
    .vgpr_spill_count: 0
    .wavefront_size: 32
  - .args:
      - .offset:         0
        .size:           4
        .value_kind:     by_value
      - .address_space:  global
        .offset:         8
        .size:           8
        .value_kind:     global_buffer
    .group_segment_fixed_size: 0
    .kernarg_segment_align: 8
    .kernarg_segment_size: 16
    .language:       OpenCL C
    .language_version:
      - 2
      - 0
    .max_flat_workgroup_size: 256
    .name:           _ZN9rocsparseL16conjugate_kernelILj256Ei21rocsparse_complex_numIfEEEvT0_PT1_
    .private_segment_fixed_size: 0
    .sgpr_count:     8
    .sgpr_spill_count: 0
    .symbol:         _ZN9rocsparseL16conjugate_kernelILj256Ei21rocsparse_complex_numIfEEEvT0_PT1_.kd
    .uniform_work_group_size: 1
    .uses_dynamic_stack: false
    .vgpr_count:     3
    .vgpr_spill_count: 0
    .wavefront_size: 32
  - .args:
      - .offset:         0
        .size:           4
        .value_kind:     by_value
      - .address_space:  global
        .offset:         8
        .size:           8
        .value_kind:     global_buffer
    .group_segment_fixed_size: 0
    .kernarg_segment_align: 8
    .kernarg_segment_size: 16
    .language:       OpenCL C
    .language_version:
      - 2
      - 0
    .max_flat_workgroup_size: 256
    .name:           _ZN9rocsparseL16conjugate_kernelILj256Ei21rocsparse_complex_numIdEEEvT0_PT1_
    .private_segment_fixed_size: 0
    .sgpr_count:     8
    .sgpr_spill_count: 0
    .symbol:         _ZN9rocsparseL16conjugate_kernelILj256Ei21rocsparse_complex_numIdEEEvT0_PT1_.kd
    .uniform_work_group_size: 1
    .uses_dynamic_stack: false
    .vgpr_count:     4
    .vgpr_spill_count: 0
    .wavefront_size: 32
  - .args:
      - .offset:         0
        .size:           8
        .value_kind:     by_value
      - .address_space:  global
        .offset:         8
        .size:           8
        .value_kind:     global_buffer
    .group_segment_fixed_size: 0
    .kernarg_segment_align: 8
    .kernarg_segment_size: 16
    .language:       OpenCL C
    .language_version:
      - 2
      - 0
    .max_flat_workgroup_size: 256
    .name:           _ZN9rocsparseL16conjugate_kernelILj256ElfEEvT0_PT1_
    .private_segment_fixed_size: 0
    .sgpr_count:     0
    .sgpr_spill_count: 0
    .symbol:         _ZN9rocsparseL16conjugate_kernelILj256ElfEEvT0_PT1_.kd
    .uniform_work_group_size: 1
    .uses_dynamic_stack: false
    .vgpr_count:     0
    .vgpr_spill_count: 0
    .wavefront_size: 32
  - .args:
      - .offset:         0
        .size:           8
        .value_kind:     by_value
      - .address_space:  global
        .offset:         8
        .size:           8
        .value_kind:     global_buffer
    .group_segment_fixed_size: 0
    .kernarg_segment_align: 8
    .kernarg_segment_size: 16
    .language:       OpenCL C
    .language_version:
      - 2
      - 0
    .max_flat_workgroup_size: 256
    .name:           _ZN9rocsparseL16conjugate_kernelILj256EldEEvT0_PT1_
    .private_segment_fixed_size: 0
    .sgpr_count:     0
    .sgpr_spill_count: 0
    .symbol:         _ZN9rocsparseL16conjugate_kernelILj256EldEEvT0_PT1_.kd
    .uniform_work_group_size: 1
    .uses_dynamic_stack: false
    .vgpr_count:     0
    .vgpr_spill_count: 0
    .wavefront_size: 32
  - .args:
      - .offset:         0
        .size:           8
        .value_kind:     by_value
      - .address_space:  global
        .offset:         8
        .size:           8
        .value_kind:     global_buffer
    .group_segment_fixed_size: 0
    .kernarg_segment_align: 8
    .kernarg_segment_size: 16
    .language:       OpenCL C
    .language_version:
      - 2
      - 0
    .max_flat_workgroup_size: 256
    .name:           _ZN9rocsparseL16conjugate_kernelILj256El21rocsparse_complex_numIfEEEvT0_PT1_
    .private_segment_fixed_size: 0
    .sgpr_count:     9
    .sgpr_spill_count: 0
    .symbol:         _ZN9rocsparseL16conjugate_kernelILj256El21rocsparse_complex_numIfEEEvT0_PT1_.kd
    .uniform_work_group_size: 1
    .uses_dynamic_stack: false
    .vgpr_count:     3
    .vgpr_spill_count: 0
    .wavefront_size: 32
  - .args:
      - .offset:         0
        .size:           8
        .value_kind:     by_value
      - .address_space:  global
        .offset:         8
        .size:           8
        .value_kind:     global_buffer
    .group_segment_fixed_size: 0
    .kernarg_segment_align: 8
    .kernarg_segment_size: 16
    .language:       OpenCL C
    .language_version:
      - 2
      - 0
    .max_flat_workgroup_size: 256
    .name:           _ZN9rocsparseL16conjugate_kernelILj256El21rocsparse_complex_numIdEEEvT0_PT1_
    .private_segment_fixed_size: 0
    .sgpr_count:     9
    .sgpr_spill_count: 0
    .symbol:         _ZN9rocsparseL16conjugate_kernelILj256El21rocsparse_complex_numIdEEEvT0_PT1_.kd
    .uniform_work_group_size: 1
    .uses_dynamic_stack: false
    .vgpr_count:     4
    .vgpr_spill_count: 0
    .wavefront_size: 32
  - .args:
      - .offset:         0
        .size:           4
        .value_kind:     by_value
      - .offset:         4
        .size:           4
        .value_kind:     by_value
      - .address_space:  global
        .offset:         8
        .size:           8
        .value_kind:     global_buffer
    .group_segment_fixed_size: 0
    .kernarg_segment_align: 8
    .kernarg_segment_size: 16
    .language:       OpenCL C
    .language_version:
      - 2
      - 0
    .max_flat_workgroup_size: 256
    .name:           _ZN9rocsparseL13valset_kernelILj256EiiEEvT0_T1_PS2_
    .private_segment_fixed_size: 0
    .sgpr_count:     9
    .sgpr_spill_count: 0
    .symbol:         _ZN9rocsparseL13valset_kernelILj256EiiEEvT0_T1_PS2_.kd
    .uniform_work_group_size: 1
    .uses_dynamic_stack: false
    .vgpr_count:     2
    .vgpr_spill_count: 0
    .wavefront_size: 32
  - .args:
      - .offset:         0
        .size:           4
        .value_kind:     by_value
      - .offset:         8
        .size:           8
        .value_kind:     by_value
      - .address_space:  global
        .offset:         16
        .size:           8
        .value_kind:     global_buffer
    .group_segment_fixed_size: 0
    .kernarg_segment_align: 8
    .kernarg_segment_size: 24
    .language:       OpenCL C
    .language_version:
      - 2
      - 0
    .max_flat_workgroup_size: 256
    .name:           _ZN9rocsparseL13valset_kernelILj256EilEEvT0_T1_PS2_
    .private_segment_fixed_size: 0
    .sgpr_count:     10
    .sgpr_spill_count: 0
    .symbol:         _ZN9rocsparseL13valset_kernelILj256EilEEvT0_T1_PS2_.kd
    .uniform_work_group_size: 1
    .uses_dynamic_stack: false
    .vgpr_count:     4
    .vgpr_spill_count: 0
    .wavefront_size: 32
  - .args:
      - .offset:         0
        .size:           8
        .value_kind:     by_value
      - .offset:         8
        .size:           4
        .value_kind:     by_value
      - .address_space:  global
        .offset:         16
        .size:           8
        .value_kind:     global_buffer
    .group_segment_fixed_size: 0
    .kernarg_segment_align: 8
    .kernarg_segment_size: 24
    .language:       OpenCL C
    .language_version:
      - 2
      - 0
    .max_flat_workgroup_size: 256
    .name:           _ZN9rocsparseL13valset_kernelILj256EliEEvT0_T1_PS2_
    .private_segment_fixed_size: 0
    .sgpr_count:     9
    .sgpr_spill_count: 0
    .symbol:         _ZN9rocsparseL13valset_kernelILj256EliEEvT0_T1_PS2_.kd
    .uniform_work_group_size: 1
    .uses_dynamic_stack: false
    .vgpr_count:     3
    .vgpr_spill_count: 0
    .wavefront_size: 32
  - .args:
      - .offset:         0
        .size:           8
        .value_kind:     by_value
      - .offset:         8
        .size:           8
        .value_kind:     by_value
      - .address_space:  global
        .offset:         16
        .size:           8
        .value_kind:     global_buffer
    .group_segment_fixed_size: 0
    .kernarg_segment_align: 8
    .kernarg_segment_size: 24
    .language:       OpenCL C
    .language_version:
      - 2
      - 0
    .max_flat_workgroup_size: 256
    .name:           _ZN9rocsparseL13valset_kernelILj256EllEEvT0_T1_PS2_
    .private_segment_fixed_size: 0
    .sgpr_count:     9
    .sgpr_spill_count: 0
    .symbol:         _ZN9rocsparseL13valset_kernelILj256EllEEvT0_T1_PS2_.kd
    .uniform_work_group_size: 1
    .uses_dynamic_stack: false
    .vgpr_count:     4
    .vgpr_spill_count: 0
    .wavefront_size: 32
  - .args:
      - .offset:         0
        .size:           4
        .value_kind:     by_value
      - .offset:         4
        .size:           4
        .value_kind:     by_value
      - .offset:         8
        .size:           8
        .value_kind:     by_value
      - .offset:         16
        .size:           2
        .value_kind:     by_value
      - .address_space:  global
        .offset:         24
        .size:           8
        .value_kind:     global_buffer
      - .offset:         32
        .size:           4
        .value_kind:     by_value
    .group_segment_fixed_size: 0
    .kernarg_segment_align: 8
    .kernarg_segment_size: 36
    .language:       OpenCL C
    .language_version:
      - 2
      - 0
    .max_flat_workgroup_size: 256
    .name:           _ZN9rocsparseL16valset_2d_kernelILj256EiDF16_EEvT0_S1_lT1_PS2_16rocsparse_order_
    .private_segment_fixed_size: 0
    .sgpr_count:     13
    .sgpr_spill_count: 0
    .symbol:         _ZN9rocsparseL16valset_2d_kernelILj256EiDF16_EEvT0_S1_lT1_PS2_16rocsparse_order_.kd
    .uniform_work_group_size: 1
    .uses_dynamic_stack: false
    .vgpr_count:     6
    .vgpr_spill_count: 0
    .wavefront_size: 32
  - .args:
      - .offset:         0
        .size:           4
        .value_kind:     by_value
      - .offset:         4
        .size:           4
        .value_kind:     by_value
      - .offset:         8
        .size:           8
        .value_kind:     by_value
      - .offset:         16
        .size:           2
        .value_kind:     by_value
      - .address_space:  global
        .offset:         24
        .size:           8
        .value_kind:     global_buffer
      - .offset:         32
        .size:           4
        .value_kind:     by_value
    .group_segment_fixed_size: 0
    .kernarg_segment_align: 8
    .kernarg_segment_size: 36
    .language:       OpenCL C
    .language_version:
      - 2
      - 0
    .max_flat_workgroup_size: 256
    .name:           _ZN9rocsparseL16valset_2d_kernelILj256Ei18rocsparse_bfloat16EEvT0_S2_lT1_PS3_16rocsparse_order_
    .private_segment_fixed_size: 0
    .sgpr_count:     13
    .sgpr_spill_count: 0
    .symbol:         _ZN9rocsparseL16valset_2d_kernelILj256Ei18rocsparse_bfloat16EEvT0_S2_lT1_PS3_16rocsparse_order_.kd
    .uniform_work_group_size: 1
    .uses_dynamic_stack: false
    .vgpr_count:     6
    .vgpr_spill_count: 0
    .wavefront_size: 32
  - .args:
      - .offset:         0
        .size:           4
        .value_kind:     by_value
      - .offset:         4
        .size:           4
        .value_kind:     by_value
      - .offset:         8
        .size:           8
        .value_kind:     by_value
      - .offset:         16
        .size:           4
        .value_kind:     by_value
      - .address_space:  global
        .offset:         24
        .size:           8
        .value_kind:     global_buffer
      - .offset:         32
        .size:           4
        .value_kind:     by_value
    .group_segment_fixed_size: 0
    .kernarg_segment_align: 8
    .kernarg_segment_size: 36
    .language:       OpenCL C
    .language_version:
      - 2
      - 0
    .max_flat_workgroup_size: 256
    .name:           _ZN9rocsparseL16valset_2d_kernelILj256EifEEvT0_S1_lT1_PS2_16rocsparse_order_
    .private_segment_fixed_size: 0
    .sgpr_count:     13
    .sgpr_spill_count: 0
    .symbol:         _ZN9rocsparseL16valset_2d_kernelILj256EifEEvT0_S1_lT1_PS2_16rocsparse_order_.kd
    .uniform_work_group_size: 1
    .uses_dynamic_stack: false
    .vgpr_count:     6
    .vgpr_spill_count: 0
    .wavefront_size: 32
  - .args:
      - .offset:         0
        .size:           4
        .value_kind:     by_value
      - .offset:         4
        .size:           4
        .value_kind:     by_value
      - .offset:         8
        .size:           8
        .value_kind:     by_value
      - .offset:         16
        .size:           8
        .value_kind:     by_value
      - .address_space:  global
        .offset:         24
        .size:           8
        .value_kind:     global_buffer
      - .offset:         32
        .size:           4
        .value_kind:     by_value
    .group_segment_fixed_size: 0
    .kernarg_segment_align: 8
    .kernarg_segment_size: 36
    .language:       OpenCL C
    .language_version:
      - 2
      - 0
    .max_flat_workgroup_size: 256
    .name:           _ZN9rocsparseL16valset_2d_kernelILj256EidEEvT0_S1_lT1_PS2_16rocsparse_order_
    .private_segment_fixed_size: 0
    .sgpr_count:     14
    .sgpr_spill_count: 0
    .symbol:         _ZN9rocsparseL16valset_2d_kernelILj256EidEEvT0_S1_lT1_PS2_16rocsparse_order_.kd
    .uniform_work_group_size: 1
    .uses_dynamic_stack: false
    .vgpr_count:     6
    .vgpr_spill_count: 0
    .wavefront_size: 32
  - .args:
      - .offset:         0
        .size:           4
        .value_kind:     by_value
      - .offset:         4
        .size:           4
        .value_kind:     by_value
      - .offset:         8
        .size:           8
        .value_kind:     by_value
      - .offset:         16
        .size:           8
        .value_kind:     by_value
      - .address_space:  global
        .offset:         24
        .size:           8
        .value_kind:     global_buffer
      - .offset:         32
        .size:           4
        .value_kind:     by_value
    .group_segment_fixed_size: 0
    .kernarg_segment_align: 8
    .kernarg_segment_size: 36
    .language:       OpenCL C
    .language_version:
      - 2
      - 0
    .max_flat_workgroup_size: 256
    .name:           _ZN9rocsparseL16valset_2d_kernelILj256Ei21rocsparse_complex_numIfEEEvT0_S3_lT1_PS4_16rocsparse_order_
    .private_segment_fixed_size: 0
    .sgpr_count:     13
    .sgpr_spill_count: 0
    .symbol:         _ZN9rocsparseL16valset_2d_kernelILj256Ei21rocsparse_complex_numIfEEEvT0_S3_lT1_PS4_16rocsparse_order_.kd
    .uniform_work_group_size: 1
    .uses_dynamic_stack: false
    .vgpr_count:     6
    .vgpr_spill_count: 0
    .wavefront_size: 32
  - .args:
      - .offset:         0
        .size:           4
        .value_kind:     by_value
      - .offset:         4
        .size:           4
        .value_kind:     by_value
      - .offset:         8
        .size:           8
        .value_kind:     by_value
      - .offset:         16
        .size:           16
        .value_kind:     by_value
      - .address_space:  global
        .offset:         32
        .size:           8
        .value_kind:     global_buffer
      - .offset:         40
        .size:           4
        .value_kind:     by_value
    .group_segment_fixed_size: 0
    .kernarg_segment_align: 8
    .kernarg_segment_size: 44
    .language:       OpenCL C
    .language_version:
      - 2
      - 0
    .max_flat_workgroup_size: 256
    .name:           _ZN9rocsparseL16valset_2d_kernelILj256Ei21rocsparse_complex_numIdEEEvT0_S3_lT1_PS4_16rocsparse_order_
    .private_segment_fixed_size: 0
    .sgpr_count:     14
    .sgpr_spill_count: 0
    .symbol:         _ZN9rocsparseL16valset_2d_kernelILj256Ei21rocsparse_complex_numIdEEEvT0_S3_lT1_PS4_16rocsparse_order_.kd
    .uniform_work_group_size: 1
    .uses_dynamic_stack: false
    .vgpr_count:     6
    .vgpr_spill_count: 0
    .wavefront_size: 32
  - .args:
      - .offset:         0
        .size:           8
        .value_kind:     by_value
      - .offset:         8
        .size:           8
        .value_kind:     by_value
      - .offset:         16
        .size:           8
        .value_kind:     by_value
      - .offset:         24
        .size:           2
        .value_kind:     by_value
      - .address_space:  global
        .offset:         32
        .size:           8
        .value_kind:     global_buffer
      - .offset:         40
        .size:           4
        .value_kind:     by_value
    .group_segment_fixed_size: 0
    .kernarg_segment_align: 8
    .kernarg_segment_size: 44
    .language:       OpenCL C
    .language_version:
      - 2
      - 0
    .max_flat_workgroup_size: 256
    .name:           _ZN9rocsparseL16valset_2d_kernelILj256ElDF16_EEvT0_S1_lT1_PS2_16rocsparse_order_
    .private_segment_fixed_size: 0
    .sgpr_count:     24
    .sgpr_spill_count: 0
    .symbol:         _ZN9rocsparseL16valset_2d_kernelILj256ElDF16_EEvT0_S1_lT1_PS2_16rocsparse_order_.kd
    .uniform_work_group_size: 1
    .uses_dynamic_stack: false
    .vgpr_count:     13
    .vgpr_spill_count: 0
    .wavefront_size: 32
  - .args:
      - .offset:         0
        .size:           8
        .value_kind:     by_value
      - .offset:         8
        .size:           8
        .value_kind:     by_value
      - .offset:         16
        .size:           8
        .value_kind:     by_value
      - .offset:         24
        .size:           2
        .value_kind:     by_value
      - .address_space:  global
        .offset:         32
        .size:           8
        .value_kind:     global_buffer
      - .offset:         40
        .size:           4
        .value_kind:     by_value
    .group_segment_fixed_size: 0
    .kernarg_segment_align: 8
    .kernarg_segment_size: 44
    .language:       OpenCL C
    .language_version:
      - 2
      - 0
    .max_flat_workgroup_size: 256
    .name:           _ZN9rocsparseL16valset_2d_kernelILj256El18rocsparse_bfloat16EEvT0_S2_lT1_PS3_16rocsparse_order_
    .private_segment_fixed_size: 0
    .sgpr_count:     24
    .sgpr_spill_count: 0
    .symbol:         _ZN9rocsparseL16valset_2d_kernelILj256El18rocsparse_bfloat16EEvT0_S2_lT1_PS3_16rocsparse_order_.kd
    .uniform_work_group_size: 1
    .uses_dynamic_stack: false
    .vgpr_count:     13
    .vgpr_spill_count: 0
    .wavefront_size: 32
  - .args:
      - .offset:         0
        .size:           8
        .value_kind:     by_value
      - .offset:         8
        .size:           8
        .value_kind:     by_value
      - .offset:         16
        .size:           8
        .value_kind:     by_value
      - .offset:         24
        .size:           4
        .value_kind:     by_value
      - .address_space:  global
        .offset:         32
        .size:           8
        .value_kind:     global_buffer
      - .offset:         40
        .size:           4
        .value_kind:     by_value
    .group_segment_fixed_size: 0
    .kernarg_segment_align: 8
    .kernarg_segment_size: 44
    .language:       OpenCL C
    .language_version:
      - 2
      - 0
    .max_flat_workgroup_size: 256
    .name:           _ZN9rocsparseL16valset_2d_kernelILj256ElfEEvT0_S1_lT1_PS2_16rocsparse_order_
    .private_segment_fixed_size: 0
    .sgpr_count:     24
    .sgpr_spill_count: 0
    .symbol:         _ZN9rocsparseL16valset_2d_kernelILj256ElfEEvT0_S1_lT1_PS2_16rocsparse_order_.kd
    .uniform_work_group_size: 1
    .uses_dynamic_stack: false
    .vgpr_count:     13
    .vgpr_spill_count: 0
    .wavefront_size: 32
  - .args:
      - .offset:         0
        .size:           8
        .value_kind:     by_value
      - .offset:         8
        .size:           8
        .value_kind:     by_value
      - .offset:         16
        .size:           8
        .value_kind:     by_value
      - .offset:         24
        .size:           8
        .value_kind:     by_value
      - .address_space:  global
        .offset:         32
        .size:           8
        .value_kind:     global_buffer
      - .offset:         40
        .size:           4
        .value_kind:     by_value
    .group_segment_fixed_size: 0
    .kernarg_segment_align: 8
    .kernarg_segment_size: 44
    .language:       OpenCL C
    .language_version:
      - 2
      - 0
    .max_flat_workgroup_size: 256
    .name:           _ZN9rocsparseL16valset_2d_kernelILj256EldEEvT0_S1_lT1_PS2_16rocsparse_order_
    .private_segment_fixed_size: 0
    .sgpr_count:     26
    .sgpr_spill_count: 0
    .symbol:         _ZN9rocsparseL16valset_2d_kernelILj256EldEEvT0_S1_lT1_PS2_16rocsparse_order_.kd
    .uniform_work_group_size: 1
    .uses_dynamic_stack: false
    .vgpr_count:     13
    .vgpr_spill_count: 0
    .wavefront_size: 32
  - .args:
      - .offset:         0
        .size:           8
        .value_kind:     by_value
      - .offset:         8
        .size:           8
        .value_kind:     by_value
      - .offset:         16
        .size:           8
        .value_kind:     by_value
      - .offset:         24
        .size:           8
        .value_kind:     by_value
      - .address_space:  global
        .offset:         32
        .size:           8
        .value_kind:     global_buffer
      - .offset:         40
        .size:           4
        .value_kind:     by_value
    .group_segment_fixed_size: 0
    .kernarg_segment_align: 8
    .kernarg_segment_size: 44
    .language:       OpenCL C
    .language_version:
      - 2
      - 0
    .max_flat_workgroup_size: 256
    .name:           _ZN9rocsparseL16valset_2d_kernelILj256El21rocsparse_complex_numIfEEEvT0_S3_lT1_PS4_16rocsparse_order_
    .private_segment_fixed_size: 0
    .sgpr_count:     24
    .sgpr_spill_count: 0
    .symbol:         _ZN9rocsparseL16valset_2d_kernelILj256El21rocsparse_complex_numIfEEEvT0_S3_lT1_PS4_16rocsparse_order_.kd
    .uniform_work_group_size: 1
    .uses_dynamic_stack: false
    .vgpr_count:     13
    .vgpr_spill_count: 0
    .wavefront_size: 32
  - .args:
      - .offset:         0
        .size:           8
        .value_kind:     by_value
      - .offset:         8
        .size:           8
        .value_kind:     by_value
      - .offset:         16
        .size:           8
        .value_kind:     by_value
      - .offset:         24
        .size:           16
        .value_kind:     by_value
      - .address_space:  global
        .offset:         40
        .size:           8
        .value_kind:     global_buffer
      - .offset:         48
        .size:           4
        .value_kind:     by_value
    .group_segment_fixed_size: 0
    .kernarg_segment_align: 8
    .kernarg_segment_size: 52
    .language:       OpenCL C
    .language_version:
      - 2
      - 0
    .max_flat_workgroup_size: 256
    .name:           _ZN9rocsparseL16valset_2d_kernelILj256El21rocsparse_complex_numIdEEEvT0_S3_lT1_PS4_16rocsparse_order_
    .private_segment_fixed_size: 0
    .sgpr_count:     24
    .sgpr_spill_count: 0
    .symbol:         _ZN9rocsparseL16valset_2d_kernelILj256El21rocsparse_complex_numIdEEEvT0_S3_lT1_PS4_16rocsparse_order_.kd
    .uniform_work_group_size: 1
    .uses_dynamic_stack: false
    .vgpr_count:     13
    .vgpr_spill_count: 0
    .wavefront_size: 32
  - .args:
      - .offset:         0
        .size:           4
        .value_kind:     by_value
      - .offset:         8
        .size:           8
        .value_kind:     by_value
      - .actual_access:  write_only
        .address_space:  global
        .offset:         16
        .size:           8
        .value_kind:     global_buffer
      - .offset:         24
        .size:           1
        .value_kind:     by_value
    .group_segment_fixed_size: 0
    .kernarg_segment_align: 8
    .kernarg_segment_size: 28
    .language:       OpenCL C
    .language_version:
      - 2
      - 0
    .max_flat_workgroup_size: 256
    .name:           _ZN9rocsparseL12scale_kernelILj256Ei18rocsparse_bfloat16fEEvT0_NS_24const_host_device_scalarIT2_EEPT1_b
    .private_segment_fixed_size: 0
    .sgpr_count:     10
    .sgpr_spill_count: 0
    .symbol:         _ZN9rocsparseL12scale_kernelILj256Ei18rocsparse_bfloat16fEEvT0_NS_24const_host_device_scalarIT2_EEPT1_b.kd
    .uniform_work_group_size: 1
    .uses_dynamic_stack: false
    .vgpr_count:     2
    .vgpr_spill_count: 0
    .wavefront_size: 32
  - .args:
      - .offset:         0
        .size:           4
        .value_kind:     by_value
      - .offset:         8
        .size:           8
        .value_kind:     by_value
      - .address_space:  global
        .offset:         16
        .size:           8
        .value_kind:     global_buffer
      - .offset:         24
        .size:           1
        .value_kind:     by_value
    .group_segment_fixed_size: 0
    .kernarg_segment_align: 8
    .kernarg_segment_size: 28
    .language:       OpenCL C
    .language_version:
      - 2
      - 0
    .max_flat_workgroup_size: 256
    .name:           _ZN9rocsparseL12scale_kernelILj256EiDF16_fEEvT0_NS_24const_host_device_scalarIT2_EEPT1_b
    .private_segment_fixed_size: 0
    .sgpr_count:     9
    .sgpr_spill_count: 0
    .symbol:         _ZN9rocsparseL12scale_kernelILj256EiDF16_fEEvT0_NS_24const_host_device_scalarIT2_EEPT1_b.kd
    .uniform_work_group_size: 1
    .uses_dynamic_stack: false
    .vgpr_count:     3
    .vgpr_spill_count: 0
    .wavefront_size: 32
  - .args:
      - .offset:         0
        .size:           4
        .value_kind:     by_value
      - .offset:         8
        .size:           8
        .value_kind:     by_value
      - .address_space:  global
        .offset:         16
        .size:           8
        .value_kind:     global_buffer
      - .offset:         24
        .size:           1
        .value_kind:     by_value
    .group_segment_fixed_size: 0
    .kernarg_segment_align: 8
    .kernarg_segment_size: 28
    .language:       OpenCL C
    .language_version:
      - 2
      - 0
    .max_flat_workgroup_size: 256
    .name:           _ZN9rocsparseL12scale_kernelILj256EiiiEEvT0_NS_24const_host_device_scalarIT2_EEPT1_b
    .private_segment_fixed_size: 0
    .sgpr_count:     9
    .sgpr_spill_count: 0
    .symbol:         _ZN9rocsparseL12scale_kernelILj256EiiiEEvT0_NS_24const_host_device_scalarIT2_EEPT1_b.kd
    .uniform_work_group_size: 1
    .uses_dynamic_stack: false
    .vgpr_count:     3
    .vgpr_spill_count: 0
    .wavefront_size: 32
  - .args:
      - .offset:         0
        .size:           4
        .value_kind:     by_value
      - .offset:         8
        .size:           8
        .value_kind:     by_value
      - .address_space:  global
        .offset:         16
        .size:           8
        .value_kind:     global_buffer
      - .offset:         24
        .size:           1
        .value_kind:     by_value
    .group_segment_fixed_size: 0
    .kernarg_segment_align: 8
    .kernarg_segment_size: 28
    .language:       OpenCL C
    .language_version:
      - 2
      - 0
    .max_flat_workgroup_size: 256
    .name:           _ZN9rocsparseL12scale_kernelILj256EiffEEvT0_NS_24const_host_device_scalarIT2_EEPT1_b
    .private_segment_fixed_size: 0
    .sgpr_count:     9
    .sgpr_spill_count: 0
    .symbol:         _ZN9rocsparseL12scale_kernelILj256EiffEEvT0_NS_24const_host_device_scalarIT2_EEPT1_b.kd
    .uniform_work_group_size: 1
    .uses_dynamic_stack: false
    .vgpr_count:     3
    .vgpr_spill_count: 0
    .wavefront_size: 32
  - .args:
      - .offset:         0
        .size:           4
        .value_kind:     by_value
      - .offset:         8
        .size:           8
        .value_kind:     by_value
      - .address_space:  global
        .offset:         16
        .size:           8
        .value_kind:     global_buffer
      - .offset:         24
        .size:           1
        .value_kind:     by_value
    .group_segment_fixed_size: 0
    .kernarg_segment_align: 8
    .kernarg_segment_size: 28
    .language:       OpenCL C
    .language_version:
      - 2
      - 0
    .max_flat_workgroup_size: 256
    .name:           _ZN9rocsparseL12scale_kernelILj256EiddEEvT0_NS_24const_host_device_scalarIT2_EEPT1_b
    .private_segment_fixed_size: 0
    .sgpr_count:     8
    .sgpr_spill_count: 0
    .symbol:         _ZN9rocsparseL12scale_kernelILj256EiddEEvT0_NS_24const_host_device_scalarIT2_EEPT1_b.kd
    .uniform_work_group_size: 1
    .uses_dynamic_stack: false
    .vgpr_count:     6
    .vgpr_spill_count: 0
    .wavefront_size: 32
  - .args:
      - .offset:         0
        .size:           4
        .value_kind:     by_value
      - .offset:         8
        .size:           8
        .value_kind:     by_value
      - .address_space:  global
        .offset:         16
        .size:           8
        .value_kind:     global_buffer
      - .offset:         24
        .size:           1
        .value_kind:     by_value
    .group_segment_fixed_size: 0
    .kernarg_segment_align: 8
    .kernarg_segment_size: 28
    .language:       OpenCL C
    .language_version:
      - 2
      - 0
    .max_flat_workgroup_size: 256
    .name:           _ZN9rocsparseL12scale_kernelILj256Ei21rocsparse_complex_numIfES2_EEvT0_NS_24const_host_device_scalarIT2_EEPT1_b
    .private_segment_fixed_size: 0
    .sgpr_count:     9
    .sgpr_spill_count: 0
    .symbol:         _ZN9rocsparseL12scale_kernelILj256Ei21rocsparse_complex_numIfES2_EEvT0_NS_24const_host_device_scalarIT2_EEPT1_b.kd
    .uniform_work_group_size: 1
    .uses_dynamic_stack: false
    .vgpr_count:     8
    .vgpr_spill_count: 0
    .wavefront_size: 32
  - .args:
      - .offset:         0
        .size:           4
        .value_kind:     by_value
      - .offset:         8
        .size:           16
        .value_kind:     by_value
      - .address_space:  global
        .offset:         24
        .size:           8
        .value_kind:     global_buffer
      - .offset:         32
        .size:           1
        .value_kind:     by_value
    .group_segment_fixed_size: 0
    .kernarg_segment_align: 8
    .kernarg_segment_size: 36
    .language:       OpenCL C
    .language_version:
      - 2
      - 0
    .max_flat_workgroup_size: 256
    .name:           _ZN9rocsparseL12scale_kernelILj256Ei21rocsparse_complex_numIdES2_EEvT0_NS_24const_host_device_scalarIT2_EEPT1_b
    .private_segment_fixed_size: 0
    .sgpr_count:     9
    .sgpr_spill_count: 0
    .symbol:         _ZN9rocsparseL12scale_kernelILj256Ei21rocsparse_complex_numIdES2_EEvT0_NS_24const_host_device_scalarIT2_EEPT1_b.kd
    .uniform_work_group_size: 1
    .uses_dynamic_stack: false
    .vgpr_count:     14
    .vgpr_spill_count: 0
    .wavefront_size: 32
  - .args:
      - .offset:         0
        .size:           8
        .value_kind:     by_value
      - .offset:         8
        .size:           8
        .value_kind:     by_value
      - .actual_access:  write_only
        .address_space:  global
        .offset:         16
        .size:           8
        .value_kind:     global_buffer
      - .offset:         24
        .size:           1
        .value_kind:     by_value
    .group_segment_fixed_size: 0
    .kernarg_segment_align: 8
    .kernarg_segment_size: 28
    .language:       OpenCL C
    .language_version:
      - 2
      - 0
    .max_flat_workgroup_size: 256
    .name:           _ZN9rocsparseL12scale_kernelILj256El18rocsparse_bfloat16fEEvT0_NS_24const_host_device_scalarIT2_EEPT1_b
    .private_segment_fixed_size: 0
    .sgpr_count:     11
    .sgpr_spill_count: 0
    .symbol:         _ZN9rocsparseL12scale_kernelILj256El18rocsparse_bfloat16fEEvT0_NS_24const_host_device_scalarIT2_EEPT1_b.kd
    .uniform_work_group_size: 1
    .uses_dynamic_stack: false
    .vgpr_count:     4
    .vgpr_spill_count: 0
    .wavefront_size: 32
  - .args:
      - .offset:         0
        .size:           8
        .value_kind:     by_value
      - .offset:         8
        .size:           8
        .value_kind:     by_value
      - .address_space:  global
        .offset:         16
        .size:           8
        .value_kind:     global_buffer
      - .offset:         24
        .size:           1
        .value_kind:     by_value
    .group_segment_fixed_size: 0
    .kernarg_segment_align: 8
    .kernarg_segment_size: 28
    .language:       OpenCL C
    .language_version:
      - 2
      - 0
    .max_flat_workgroup_size: 256
    .name:           _ZN9rocsparseL12scale_kernelILj256ElDF16_fEEvT0_NS_24const_host_device_scalarIT2_EEPT1_b
    .private_segment_fixed_size: 0
    .sgpr_count:     10
    .sgpr_spill_count: 0
    .symbol:         _ZN9rocsparseL12scale_kernelILj256ElDF16_fEEvT0_NS_24const_host_device_scalarIT2_EEPT1_b.kd
    .uniform_work_group_size: 1
    .uses_dynamic_stack: false
    .vgpr_count:     4
    .vgpr_spill_count: 0
    .wavefront_size: 32
  - .args:
      - .offset:         0
        .size:           8
        .value_kind:     by_value
      - .offset:         8
        .size:           8
        .value_kind:     by_value
      - .address_space:  global
        .offset:         16
        .size:           8
        .value_kind:     global_buffer
      - .offset:         24
        .size:           1
        .value_kind:     by_value
    .group_segment_fixed_size: 0
    .kernarg_segment_align: 8
    .kernarg_segment_size: 28
    .language:       OpenCL C
    .language_version:
      - 2
      - 0
    .max_flat_workgroup_size: 256
    .name:           _ZN9rocsparseL12scale_kernelILj256EliiEEvT0_NS_24const_host_device_scalarIT2_EEPT1_b
    .private_segment_fixed_size: 0
    .sgpr_count:     10
    .sgpr_spill_count: 0
    .symbol:         _ZN9rocsparseL12scale_kernelILj256EliiEEvT0_NS_24const_host_device_scalarIT2_EEPT1_b.kd
    .uniform_work_group_size: 1
    .uses_dynamic_stack: false
    .vgpr_count:     3
    .vgpr_spill_count: 0
    .wavefront_size: 32
  - .args:
      - .offset:         0
        .size:           8
        .value_kind:     by_value
      - .offset:         8
        .size:           8
        .value_kind:     by_value
      - .address_space:  global
        .offset:         16
        .size:           8
        .value_kind:     global_buffer
      - .offset:         24
        .size:           1
        .value_kind:     by_value
    .group_segment_fixed_size: 0
    .kernarg_segment_align: 8
    .kernarg_segment_size: 28
    .language:       OpenCL C
    .language_version:
      - 2
      - 0
    .max_flat_workgroup_size: 256
    .name:           _ZN9rocsparseL12scale_kernelILj256ElffEEvT0_NS_24const_host_device_scalarIT2_EEPT1_b
    .private_segment_fixed_size: 0
    .sgpr_count:     10
    .sgpr_spill_count: 0
    .symbol:         _ZN9rocsparseL12scale_kernelILj256ElffEEvT0_NS_24const_host_device_scalarIT2_EEPT1_b.kd
    .uniform_work_group_size: 1
    .uses_dynamic_stack: false
    .vgpr_count:     3
    .vgpr_spill_count: 0
    .wavefront_size: 32
  - .args:
      - .offset:         0
        .size:           8
        .value_kind:     by_value
      - .offset:         8
        .size:           8
        .value_kind:     by_value
      - .address_space:  global
        .offset:         16
        .size:           8
        .value_kind:     global_buffer
      - .offset:         24
        .size:           1
        .value_kind:     by_value
    .group_segment_fixed_size: 0
    .kernarg_segment_align: 8
    .kernarg_segment_size: 28
    .language:       OpenCL C
    .language_version:
      - 2
      - 0
    .max_flat_workgroup_size: 256
    .name:           _ZN9rocsparseL12scale_kernelILj256ElddEEvT0_NS_24const_host_device_scalarIT2_EEPT1_b
    .private_segment_fixed_size: 0
    .sgpr_count:     10
    .sgpr_spill_count: 0
    .symbol:         _ZN9rocsparseL12scale_kernelILj256ElddEEvT0_NS_24const_host_device_scalarIT2_EEPT1_b.kd
    .uniform_work_group_size: 1
    .uses_dynamic_stack: false
    .vgpr_count:     6
    .vgpr_spill_count: 0
    .wavefront_size: 32
  - .args:
      - .offset:         0
        .size:           8
        .value_kind:     by_value
      - .offset:         8
        .size:           8
        .value_kind:     by_value
      - .address_space:  global
        .offset:         16
        .size:           8
        .value_kind:     global_buffer
      - .offset:         24
        .size:           1
        .value_kind:     by_value
    .group_segment_fixed_size: 0
    .kernarg_segment_align: 8
    .kernarg_segment_size: 28
    .language:       OpenCL C
    .language_version:
      - 2
      - 0
    .max_flat_workgroup_size: 256
    .name:           _ZN9rocsparseL12scale_kernelILj256El21rocsparse_complex_numIfES2_EEvT0_NS_24const_host_device_scalarIT2_EEPT1_b
    .private_segment_fixed_size: 0
    .sgpr_count:     11
    .sgpr_spill_count: 0
    .symbol:         _ZN9rocsparseL12scale_kernelILj256El21rocsparse_complex_numIfES2_EEvT0_NS_24const_host_device_scalarIT2_EEPT1_b.kd
    .uniform_work_group_size: 1
    .uses_dynamic_stack: false
    .vgpr_count:     8
    .vgpr_spill_count: 0
    .wavefront_size: 32
  - .args:
      - .offset:         0
        .size:           8
        .value_kind:     by_value
      - .offset:         8
        .size:           16
        .value_kind:     by_value
      - .address_space:  global
        .offset:         24
        .size:           8
        .value_kind:     global_buffer
      - .offset:         32
        .size:           1
        .value_kind:     by_value
    .group_segment_fixed_size: 0
    .kernarg_segment_align: 8
    .kernarg_segment_size: 36
    .language:       OpenCL C
    .language_version:
      - 2
      - 0
    .max_flat_workgroup_size: 256
    .name:           _ZN9rocsparseL12scale_kernelILj256El21rocsparse_complex_numIdES2_EEvT0_NS_24const_host_device_scalarIT2_EEPT1_b
    .private_segment_fixed_size: 0
    .sgpr_count:     11
    .sgpr_spill_count: 0
    .symbol:         _ZN9rocsparseL12scale_kernelILj256El21rocsparse_complex_numIdES2_EEvT0_NS_24const_host_device_scalarIT2_EEPT1_b.kd
    .uniform_work_group_size: 1
    .uses_dynamic_stack: false
    .vgpr_count:     14
    .vgpr_spill_count: 0
    .wavefront_size: 32
  - .args:
      - .offset:         0
        .size:           4
        .value_kind:     by_value
      - .offset:         4
        .size:           4
        .value_kind:     by_value
      - .offset:         8
        .size:           8
        .value_kind:     by_value
      - .offset:         16
        .size:           8
        .value_kind:     by_value
      - .offset:         24
        .size:           8
        .value_kind:     by_value
      - .address_space:  global
        .offset:         32
        .size:           8
        .value_kind:     global_buffer
      - .offset:         40
        .size:           4
        .value_kind:     by_value
      - .offset:         44
        .size:           1
        .value_kind:     by_value
    .group_segment_fixed_size: 0
    .kernarg_segment_align: 8
    .kernarg_segment_size: 48
    .language:       OpenCL C
    .language_version:
      - 2
      - 0
    .max_flat_workgroup_size: 256
    .name:           _ZN9rocsparseL15scale_2d_kernelILj256EiDF16_EEvT0_S1_llNS_24const_host_device_scalarIT1_EEPS3_16rocsparse_order_b
    .private_segment_fixed_size: 0
    .sgpr_count:     12
    .sgpr_spill_count: 0
    .symbol:         _ZN9rocsparseL15scale_2d_kernelILj256EiDF16_EEvT0_S1_llNS_24const_host_device_scalarIT1_EEPS3_16rocsparse_order_b.kd
    .uniform_work_group_size: 1
    .uses_dynamic_stack: false
    .vgpr_count:     6
    .vgpr_spill_count: 0
    .wavefront_size: 32
  - .args:
      - .offset:         0
        .size:           4
        .value_kind:     by_value
      - .offset:         4
        .size:           4
        .value_kind:     by_value
      - .offset:         8
        .size:           8
        .value_kind:     by_value
      - .offset:         16
        .size:           8
        .value_kind:     by_value
      - .offset:         24
        .size:           8
        .value_kind:     by_value
      - .address_space:  global
        .offset:         32
        .size:           8
        .value_kind:     global_buffer
      - .offset:         40
        .size:           4
        .value_kind:     by_value
      - .offset:         44
        .size:           1
        .value_kind:     by_value
    .group_segment_fixed_size: 0
    .kernarg_segment_align: 8
    .kernarg_segment_size: 48
    .language:       OpenCL C
    .language_version:
      - 2
      - 0
    .max_flat_workgroup_size: 256
    .name:           _ZN9rocsparseL15scale_2d_kernelILj256EiiEEvT0_S1_llNS_24const_host_device_scalarIT1_EEPS3_16rocsparse_order_b
    .private_segment_fixed_size: 0
    .sgpr_count:     14
    .sgpr_spill_count: 0
    .symbol:         _ZN9rocsparseL15scale_2d_kernelILj256EiiEEvT0_S1_llNS_24const_host_device_scalarIT1_EEPS3_16rocsparse_order_b.kd
    .uniform_work_group_size: 1
    .uses_dynamic_stack: false
    .vgpr_count:     6
    .vgpr_spill_count: 0
    .wavefront_size: 32
  - .args:
      - .offset:         0
        .size:           4
        .value_kind:     by_value
      - .offset:         4
        .size:           4
        .value_kind:     by_value
      - .offset:         8
        .size:           8
        .value_kind:     by_value
      - .offset:         16
        .size:           8
        .value_kind:     by_value
      - .offset:         24
        .size:           8
        .value_kind:     by_value
      - .address_space:  global
        .offset:         32
        .size:           8
        .value_kind:     global_buffer
      - .offset:         40
        .size:           4
        .value_kind:     by_value
      - .offset:         44
        .size:           1
        .value_kind:     by_value
    .group_segment_fixed_size: 0
    .kernarg_segment_align: 8
    .kernarg_segment_size: 48
    .language:       OpenCL C
    .language_version:
      - 2
      - 0
    .max_flat_workgroup_size: 256
    .name:           _ZN9rocsparseL15scale_2d_kernelILj256EifEEvT0_S1_llNS_24const_host_device_scalarIT1_EEPS3_16rocsparse_order_b
    .private_segment_fixed_size: 0
    .sgpr_count:     12
    .sgpr_spill_count: 0
    .symbol:         _ZN9rocsparseL15scale_2d_kernelILj256EifEEvT0_S1_llNS_24const_host_device_scalarIT1_EEPS3_16rocsparse_order_b.kd
    .uniform_work_group_size: 1
    .uses_dynamic_stack: false
    .vgpr_count:     6
    .vgpr_spill_count: 0
    .wavefront_size: 32
  - .args:
      - .offset:         0
        .size:           4
        .value_kind:     by_value
      - .offset:         4
        .size:           4
        .value_kind:     by_value
      - .offset:         8
        .size:           8
        .value_kind:     by_value
      - .offset:         16
        .size:           8
        .value_kind:     by_value
      - .offset:         24
        .size:           8
        .value_kind:     by_value
      - .address_space:  global
        .offset:         32
        .size:           8
        .value_kind:     global_buffer
      - .offset:         40
        .size:           4
        .value_kind:     by_value
      - .offset:         44
        .size:           1
        .value_kind:     by_value
    .group_segment_fixed_size: 0
    .kernarg_segment_align: 8
    .kernarg_segment_size: 48
    .language:       OpenCL C
    .language_version:
      - 2
      - 0
    .max_flat_workgroup_size: 256
    .name:           _ZN9rocsparseL15scale_2d_kernelILj256EidEEvT0_S1_llNS_24const_host_device_scalarIT1_EEPS3_16rocsparse_order_b
    .private_segment_fixed_size: 0
    .sgpr_count:     11
    .sgpr_spill_count: 0
    .symbol:         _ZN9rocsparseL15scale_2d_kernelILj256EidEEvT0_S1_llNS_24const_host_device_scalarIT1_EEPS3_16rocsparse_order_b.kd
    .uniform_work_group_size: 1
    .uses_dynamic_stack: false
    .vgpr_count:     8
    .vgpr_spill_count: 0
    .wavefront_size: 32
  - .args:
      - .offset:         0
        .size:           4
        .value_kind:     by_value
      - .offset:         4
        .size:           4
        .value_kind:     by_value
      - .offset:         8
        .size:           8
        .value_kind:     by_value
      - .offset:         16
        .size:           8
        .value_kind:     by_value
      - .offset:         24
        .size:           8
        .value_kind:     by_value
      - .address_space:  global
        .offset:         32
        .size:           8
        .value_kind:     global_buffer
      - .offset:         40
        .size:           4
        .value_kind:     by_value
      - .offset:         44
        .size:           1
        .value_kind:     by_value
    .group_segment_fixed_size: 0
    .kernarg_segment_align: 8
    .kernarg_segment_size: 48
    .language:       OpenCL C
    .language_version:
      - 2
      - 0
    .max_flat_workgroup_size: 256
    .name:           _ZN9rocsparseL15scale_2d_kernelILj256Ei21rocsparse_complex_numIfEEEvT0_S3_llNS_24const_host_device_scalarIT1_EEPS5_16rocsparse_order_b
    .private_segment_fixed_size: 0
    .sgpr_count:     14
    .sgpr_spill_count: 0
    .symbol:         _ZN9rocsparseL15scale_2d_kernelILj256Ei21rocsparse_complex_numIfEEEvT0_S3_llNS_24const_host_device_scalarIT1_EEPS5_16rocsparse_order_b.kd
    .uniform_work_group_size: 1
    .uses_dynamic_stack: false
    .vgpr_count:     8
    .vgpr_spill_count: 0
    .wavefront_size: 32
  - .args:
      - .offset:         0
        .size:           4
        .value_kind:     by_value
      - .offset:         4
        .size:           4
        .value_kind:     by_value
      - .offset:         8
        .size:           8
        .value_kind:     by_value
      - .offset:         16
        .size:           8
        .value_kind:     by_value
      - .offset:         24
        .size:           16
        .value_kind:     by_value
      - .address_space:  global
        .offset:         40
        .size:           8
        .value_kind:     global_buffer
      - .offset:         48
        .size:           4
        .value_kind:     by_value
      - .offset:         52
        .size:           1
        .value_kind:     by_value
    .group_segment_fixed_size: 0
    .kernarg_segment_align: 8
    .kernarg_segment_size: 56
    .language:       OpenCL C
    .language_version:
      - 2
      - 0
    .max_flat_workgroup_size: 256
    .name:           _ZN9rocsparseL15scale_2d_kernelILj256Ei21rocsparse_complex_numIdEEEvT0_S3_llNS_24const_host_device_scalarIT1_EEPS5_16rocsparse_order_b
    .private_segment_fixed_size: 0
    .sgpr_count:     14
    .sgpr_spill_count: 0
    .symbol:         _ZN9rocsparseL15scale_2d_kernelILj256Ei21rocsparse_complex_numIdEEEvT0_S3_llNS_24const_host_device_scalarIT1_EEPS5_16rocsparse_order_b.kd
    .uniform_work_group_size: 1
    .uses_dynamic_stack: false
    .vgpr_count:     14
    .vgpr_spill_count: 0
    .wavefront_size: 32
  - .args:
      - .offset:         0
        .size:           8
        .value_kind:     by_value
      - .offset:         8
        .size:           8
        .value_kind:     by_value
      - .offset:         16
        .size:           8
        .value_kind:     by_value
      - .offset:         24
        .size:           8
        .value_kind:     by_value
      - .offset:         32
        .size:           8
        .value_kind:     by_value
      - .address_space:  global
        .offset:         40
        .size:           8
        .value_kind:     global_buffer
      - .offset:         48
        .size:           4
        .value_kind:     by_value
      - .offset:         52
        .size:           1
        .value_kind:     by_value
    .group_segment_fixed_size: 0
    .kernarg_segment_align: 8
    .kernarg_segment_size: 56
    .language:       OpenCL C
    .language_version:
      - 2
      - 0
    .max_flat_workgroup_size: 256
    .name:           _ZN9rocsparseL15scale_2d_kernelILj256ElDF16_EEvT0_S1_llNS_24const_host_device_scalarIT1_EEPS3_16rocsparse_order_b
    .private_segment_fixed_size: 0
    .sgpr_count:     28
    .sgpr_spill_count: 0
    .symbol:         _ZN9rocsparseL15scale_2d_kernelILj256ElDF16_EEvT0_S1_llNS_24const_host_device_scalarIT1_EEPS3_16rocsparse_order_b.kd
    .uniform_work_group_size: 1
    .uses_dynamic_stack: false
    .vgpr_count:     13
    .vgpr_spill_count: 0
    .wavefront_size: 32
  - .args:
      - .offset:         0
        .size:           8
        .value_kind:     by_value
      - .offset:         8
        .size:           8
        .value_kind:     by_value
      - .offset:         16
        .size:           8
        .value_kind:     by_value
      - .offset:         24
        .size:           8
        .value_kind:     by_value
      - .offset:         32
        .size:           8
        .value_kind:     by_value
      - .address_space:  global
        .offset:         40
        .size:           8
        .value_kind:     global_buffer
      - .offset:         48
        .size:           4
        .value_kind:     by_value
      - .offset:         52
        .size:           1
        .value_kind:     by_value
    .group_segment_fixed_size: 0
    .kernarg_segment_align: 8
    .kernarg_segment_size: 56
    .language:       OpenCL C
    .language_version:
      - 2
      - 0
    .max_flat_workgroup_size: 256
    .name:           _ZN9rocsparseL15scale_2d_kernelILj256EliEEvT0_S1_llNS_24const_host_device_scalarIT1_EEPS3_16rocsparse_order_b
    .private_segment_fixed_size: 0
    .sgpr_count:     28
    .sgpr_spill_count: 0
    .symbol:         _ZN9rocsparseL15scale_2d_kernelILj256EliEEvT0_S1_llNS_24const_host_device_scalarIT1_EEPS3_16rocsparse_order_b.kd
    .uniform_work_group_size: 1
    .uses_dynamic_stack: false
    .vgpr_count:     13
    .vgpr_spill_count: 0
    .wavefront_size: 32
  - .args:
      - .offset:         0
        .size:           8
        .value_kind:     by_value
      - .offset:         8
        .size:           8
        .value_kind:     by_value
      - .offset:         16
        .size:           8
        .value_kind:     by_value
      - .offset:         24
        .size:           8
        .value_kind:     by_value
      - .offset:         32
        .size:           8
        .value_kind:     by_value
      - .address_space:  global
        .offset:         40
        .size:           8
        .value_kind:     global_buffer
      - .offset:         48
        .size:           4
        .value_kind:     by_value
      - .offset:         52
        .size:           1
        .value_kind:     by_value
    .group_segment_fixed_size: 0
    .kernarg_segment_align: 8
    .kernarg_segment_size: 56
    .language:       OpenCL C
    .language_version:
      - 2
      - 0
    .max_flat_workgroup_size: 256
    .name:           _ZN9rocsparseL15scale_2d_kernelILj256ElfEEvT0_S1_llNS_24const_host_device_scalarIT1_EEPS3_16rocsparse_order_b
    .private_segment_fixed_size: 0
    .sgpr_count:     28
    .sgpr_spill_count: 0
    .symbol:         _ZN9rocsparseL15scale_2d_kernelILj256ElfEEvT0_S1_llNS_24const_host_device_scalarIT1_EEPS3_16rocsparse_order_b.kd
    .uniform_work_group_size: 1
    .uses_dynamic_stack: false
    .vgpr_count:     13
    .vgpr_spill_count: 0
    .wavefront_size: 32
  - .args:
      - .offset:         0
        .size:           8
        .value_kind:     by_value
      - .offset:         8
        .size:           8
        .value_kind:     by_value
      - .offset:         16
        .size:           8
        .value_kind:     by_value
      - .offset:         24
        .size:           8
        .value_kind:     by_value
      - .offset:         32
        .size:           8
        .value_kind:     by_value
      - .address_space:  global
        .offset:         40
        .size:           8
        .value_kind:     global_buffer
      - .offset:         48
        .size:           4
        .value_kind:     by_value
      - .offset:         52
        .size:           1
        .value_kind:     by_value
    .group_segment_fixed_size: 0
    .kernarg_segment_align: 8
    .kernarg_segment_size: 56
    .language:       OpenCL C
    .language_version:
      - 2
      - 0
    .max_flat_workgroup_size: 256
    .name:           _ZN9rocsparseL15scale_2d_kernelILj256EldEEvT0_S1_llNS_24const_host_device_scalarIT1_EEPS3_16rocsparse_order_b
    .private_segment_fixed_size: 0
    .sgpr_count:     27
    .sgpr_spill_count: 0
    .symbol:         _ZN9rocsparseL15scale_2d_kernelILj256EldEEvT0_S1_llNS_24const_host_device_scalarIT1_EEPS3_16rocsparse_order_b.kd
    .uniform_work_group_size: 1
    .uses_dynamic_stack: false
    .vgpr_count:     15
    .vgpr_spill_count: 0
    .wavefront_size: 32
  - .args:
      - .offset:         0
        .size:           8
        .value_kind:     by_value
      - .offset:         8
        .size:           8
        .value_kind:     by_value
      - .offset:         16
        .size:           8
        .value_kind:     by_value
      - .offset:         24
        .size:           8
        .value_kind:     by_value
      - .offset:         32
        .size:           8
        .value_kind:     by_value
      - .address_space:  global
        .offset:         40
        .size:           8
        .value_kind:     global_buffer
      - .offset:         48
        .size:           4
        .value_kind:     by_value
      - .offset:         52
        .size:           1
        .value_kind:     by_value
    .group_segment_fixed_size: 0
    .kernarg_segment_align: 8
    .kernarg_segment_size: 56
    .language:       OpenCL C
    .language_version:
      - 2
      - 0
    .max_flat_workgroup_size: 256
    .name:           _ZN9rocsparseL15scale_2d_kernelILj256El21rocsparse_complex_numIfEEEvT0_S3_llNS_24const_host_device_scalarIT1_EEPS5_16rocsparse_order_b
    .private_segment_fixed_size: 0
    .sgpr_count:     27
    .sgpr_spill_count: 0
    .symbol:         _ZN9rocsparseL15scale_2d_kernelILj256El21rocsparse_complex_numIfEEEvT0_S3_llNS_24const_host_device_scalarIT1_EEPS5_16rocsparse_order_b.kd
    .uniform_work_group_size: 1
    .uses_dynamic_stack: false
    .vgpr_count:     15
    .vgpr_spill_count: 0
    .wavefront_size: 32
  - .args:
      - .offset:         0
        .size:           8
        .value_kind:     by_value
      - .offset:         8
        .size:           8
        .value_kind:     by_value
      - .offset:         16
        .size:           8
        .value_kind:     by_value
      - .offset:         24
        .size:           8
        .value_kind:     by_value
      - .offset:         32
        .size:           16
        .value_kind:     by_value
      - .address_space:  global
        .offset:         48
        .size:           8
        .value_kind:     global_buffer
      - .offset:         56
        .size:           4
        .value_kind:     by_value
      - .offset:         60
        .size:           1
        .value_kind:     by_value
    .group_segment_fixed_size: 0
    .kernarg_segment_align: 8
    .kernarg_segment_size: 64
    .language:       OpenCL C
    .language_version:
      - 2
      - 0
    .max_flat_workgroup_size: 256
    .name:           _ZN9rocsparseL15scale_2d_kernelILj256El21rocsparse_complex_numIdEEEvT0_S3_llNS_24const_host_device_scalarIT1_EEPS5_16rocsparse_order_b
    .private_segment_fixed_size: 0
    .sgpr_count:     27
    .sgpr_spill_count: 0
    .symbol:         _ZN9rocsparseL15scale_2d_kernelILj256El21rocsparse_complex_numIdEEEvT0_S3_llNS_24const_host_device_scalarIT1_EEPS5_16rocsparse_order_b.kd
    .uniform_work_group_size: 1
    .uses_dynamic_stack: false
    .vgpr_count:     17
    .vgpr_spill_count: 0
    .wavefront_size: 32
  - .args:
      - .offset:         0
        .size:           8
        .value_kind:     by_value
      - .address_space:  global
        .offset:         8
        .size:           8
        .value_kind:     global_buffer
      - .address_space:  global
        .offset:         16
        .size:           8
        .value_kind:     global_buffer
      - .offset:         24
        .size:           4
        .value_kind:     by_value
      - .offset:         28
        .size:           4
        .value_kind:     by_value
    .group_segment_fixed_size: 0
    .kernarg_segment_align: 8
    .kernarg_segment_size: 32
    .language:       OpenCL C
    .language_version:
      - 2
      - 0
    .max_flat_workgroup_size: 256
    .name:           _ZN9rocsparseL11copy_kernelILj256EiiEEvlPKT0_PT1_21rocsparse_index_base_S6_
    .private_segment_fixed_size: 0
    .sgpr_count:     9
    .sgpr_spill_count: 0
    .symbol:         _ZN9rocsparseL11copy_kernelILj256EiiEEvlPKT0_PT1_21rocsparse_index_base_S6_.kd
    .uniform_work_group_size: 1
    .uses_dynamic_stack: false
    .vgpr_count:     4
    .vgpr_spill_count: 0
    .wavefront_size: 32
  - .args:
      - .offset:         0
        .size:           8
        .value_kind:     by_value
      - .address_space:  global
        .offset:         8
        .size:           8
        .value_kind:     global_buffer
      - .address_space:  global
        .offset:         16
        .size:           8
        .value_kind:     global_buffer
      - .offset:         24
        .size:           4
        .value_kind:     by_value
      - .offset:         28
        .size:           4
        .value_kind:     by_value
    .group_segment_fixed_size: 0
    .kernarg_segment_align: 8
    .kernarg_segment_size: 32
    .language:       OpenCL C
    .language_version:
      - 2
      - 0
    .max_flat_workgroup_size: 256
    .name:           _ZN9rocsparseL11copy_kernelILj256EilEEvlPKT0_PT1_21rocsparse_index_base_S6_
    .private_segment_fixed_size: 0
    .sgpr_count:     9
    .sgpr_spill_count: 0
    .symbol:         _ZN9rocsparseL11copy_kernelILj256EilEEvlPKT0_PT1_21rocsparse_index_base_S6_.kd
    .uniform_work_group_size: 1
    .uses_dynamic_stack: false
    .vgpr_count:     4
    .vgpr_spill_count: 0
    .wavefront_size: 32
  - .args:
      - .offset:         0
        .size:           8
        .value_kind:     by_value
      - .address_space:  global
        .offset:         8
        .size:           8
        .value_kind:     global_buffer
      - .address_space:  global
        .offset:         16
        .size:           8
        .value_kind:     global_buffer
      - .offset:         24
        .size:           4
        .value_kind:     by_value
      - .offset:         28
        .size:           4
        .value_kind:     by_value
    .group_segment_fixed_size: 0
    .kernarg_segment_align: 8
    .kernarg_segment_size: 32
    .language:       OpenCL C
    .language_version:
      - 2
      - 0
    .max_flat_workgroup_size: 256
    .name:           _ZN9rocsparseL11copy_kernelILj256EliEEvlPKT0_PT1_21rocsparse_index_base_S6_
    .private_segment_fixed_size: 0
    .sgpr_count:     9
    .sgpr_spill_count: 0
    .symbol:         _ZN9rocsparseL11copy_kernelILj256EliEEvlPKT0_PT1_21rocsparse_index_base_S6_.kd
    .uniform_work_group_size: 1
    .uses_dynamic_stack: false
    .vgpr_count:     4
    .vgpr_spill_count: 0
    .wavefront_size: 32
  - .args:
      - .offset:         0
        .size:           8
        .value_kind:     by_value
      - .address_space:  global
        .offset:         8
        .size:           8
        .value_kind:     global_buffer
      - .address_space:  global
        .offset:         16
        .size:           8
        .value_kind:     global_buffer
      - .offset:         24
        .size:           4
        .value_kind:     by_value
      - .offset:         28
        .size:           4
        .value_kind:     by_value
    .group_segment_fixed_size: 0
    .kernarg_segment_align: 8
    .kernarg_segment_size: 32
    .language:       OpenCL C
    .language_version:
      - 2
      - 0
    .max_flat_workgroup_size: 256
    .name:           _ZN9rocsparseL11copy_kernelILj256EllEEvlPKT0_PT1_21rocsparse_index_base_S6_
    .private_segment_fixed_size: 0
    .sgpr_count:     9
    .sgpr_spill_count: 0
    .symbol:         _ZN9rocsparseL11copy_kernelILj256EllEEvlPKT0_PT1_21rocsparse_index_base_S6_.kd
    .uniform_work_group_size: 1
    .uses_dynamic_stack: false
    .vgpr_count:     4
    .vgpr_spill_count: 0
    .wavefront_size: 32
  - .args:
      - .offset:         0
        .size:           8
        .value_kind:     by_value
      - .address_space:  global
        .offset:         8
        .size:           8
        .value_kind:     global_buffer
      - .address_space:  global
        .offset:         16
        .size:           8
        .value_kind:     global_buffer
      - .offset:         24
        .size:           8
        .value_kind:     by_value
      - .offset:         32
        .size:           1
        .value_kind:     by_value
    .group_segment_fixed_size: 0
    .kernarg_segment_align: 8
    .kernarg_segment_size: 36
    .language:       OpenCL C
    .language_version:
      - 2
      - 0
    .max_flat_workgroup_size: 256
    .name:           _ZN9rocsparseL21copy_and_scale_kernelILj256EfEEvlPKT0_PS1_NS_24const_host_device_scalarIS1_EEb
    .private_segment_fixed_size: 0
    .sgpr_count:     14
    .sgpr_spill_count: 0
    .symbol:         _ZN9rocsparseL21copy_and_scale_kernelILj256EfEEvlPKT0_PS1_NS_24const_host_device_scalarIS1_EEb.kd
    .uniform_work_group_size: 1
    .uses_dynamic_stack: false
    .vgpr_count:     4
    .vgpr_spill_count: 0
    .wavefront_size: 32
  - .args:
      - .offset:         0
        .size:           8
        .value_kind:     by_value
      - .address_space:  global
        .offset:         8
        .size:           8
        .value_kind:     global_buffer
      - .address_space:  global
        .offset:         16
        .size:           8
        .value_kind:     global_buffer
      - .offset:         24
        .size:           8
        .value_kind:     by_value
      - .offset:         32
        .size:           1
        .value_kind:     by_value
    .group_segment_fixed_size: 0
    .kernarg_segment_align: 8
    .kernarg_segment_size: 36
    .language:       OpenCL C
    .language_version:
      - 2
      - 0
    .max_flat_workgroup_size: 256
    .name:           _ZN9rocsparseL21copy_and_scale_kernelILj256EdEEvlPKT0_PS1_NS_24const_host_device_scalarIS1_EEb
    .private_segment_fixed_size: 0
    .sgpr_count:     14
    .sgpr_spill_count: 0
    .symbol:         _ZN9rocsparseL21copy_and_scale_kernelILj256EdEEvlPKT0_PS1_NS_24const_host_device_scalarIS1_EEb.kd
    .uniform_work_group_size: 1
    .uses_dynamic_stack: false
    .vgpr_count:     6
    .vgpr_spill_count: 0
    .wavefront_size: 32
  - .args:
      - .offset:         0
        .size:           8
        .value_kind:     by_value
      - .address_space:  global
        .offset:         8
        .size:           8
        .value_kind:     global_buffer
      - .address_space:  global
        .offset:         16
        .size:           8
        .value_kind:     global_buffer
      - .offset:         24
        .size:           8
        .value_kind:     by_value
      - .offset:         32
        .size:           1
        .value_kind:     by_value
    .group_segment_fixed_size: 0
    .kernarg_segment_align: 8
    .kernarg_segment_size: 36
    .language:       OpenCL C
    .language_version:
      - 2
      - 0
    .max_flat_workgroup_size: 256
    .name:           _ZN9rocsparseL21copy_and_scale_kernelILj256E21rocsparse_complex_numIfEEEvlPKT0_PS3_NS_24const_host_device_scalarIS3_EEb
    .private_segment_fixed_size: 0
    .sgpr_count:     14
    .sgpr_spill_count: 0
    .symbol:         _ZN9rocsparseL21copy_and_scale_kernelILj256E21rocsparse_complex_numIfEEEvlPKT0_PS3_NS_24const_host_device_scalarIS3_EEb.kd
    .uniform_work_group_size: 1
    .uses_dynamic_stack: false
    .vgpr_count:     8
    .vgpr_spill_count: 0
    .wavefront_size: 32
  - .args:
      - .offset:         0
        .size:           8
        .value_kind:     by_value
      - .address_space:  global
        .offset:         8
        .size:           8
        .value_kind:     global_buffer
      - .address_space:  global
        .offset:         16
        .size:           8
        .value_kind:     global_buffer
      - .offset:         24
        .size:           16
        .value_kind:     by_value
      - .offset:         40
        .size:           1
        .value_kind:     by_value
    .group_segment_fixed_size: 0
    .kernarg_segment_align: 8
    .kernarg_segment_size: 44
    .language:       OpenCL C
    .language_version:
      - 2
      - 0
    .max_flat_workgroup_size: 256
    .name:           _ZN9rocsparseL21copy_and_scale_kernelILj256E21rocsparse_complex_numIdEEEvlPKT0_PS3_NS_24const_host_device_scalarIS3_EEb
    .private_segment_fixed_size: 16
    .sgpr_count:     17
    .sgpr_spill_count: 0
    .symbol:         _ZN9rocsparseL21copy_and_scale_kernelILj256E21rocsparse_complex_numIdEEEvlPKT0_PS3_NS_24const_host_device_scalarIS3_EEb.kd
    .uniform_work_group_size: 1
    .uses_dynamic_stack: false
    .vgpr_count:     14
    .vgpr_spill_count: 0
    .wavefront_size: 32
amdhsa.target:   amdgcn-amd-amdhsa--gfx1250
amdhsa.version:
  - 1
  - 2
...

	.end_amdgpu_metadata
